;; amdgpu-corpus repo=ROCm/rocFFT kind=compiled arch=gfx1201 opt=O3
	.text
	.amdgcn_target "amdgcn-amd-amdhsa--gfx1201"
	.amdhsa_code_object_version 6
	.protected	bluestein_single_fwd_len2040_dim1_half_op_CI_CI ; -- Begin function bluestein_single_fwd_len2040_dim1_half_op_CI_CI
	.globl	bluestein_single_fwd_len2040_dim1_half_op_CI_CI
	.p2align	8
	.type	bluestein_single_fwd_len2040_dim1_half_op_CI_CI,@function
bluestein_single_fwd_len2040_dim1_half_op_CI_CI: ; @bluestein_single_fwd_len2040_dim1_half_op_CI_CI
; %bb.0:
	s_load_b128 s[4:7], s[0:1], 0x28
	v_mul_u32_u24_e32 v1, 0x182, v0
	s_mov_b32 s2, exec_lo
	v_mov_b32_e32 v253, 0
	s_delay_alu instid0(VALU_DEP_2) | instskip(NEXT) | instid1(VALU_DEP_1)
	v_lshrrev_b32_e32 v1, 16, v1
	v_add_nc_u32_e32 v252, ttmp9, v1
	s_wait_kmcnt 0x0
	s_delay_alu instid0(VALU_DEP_1)
	v_cmpx_gt_u64_e64 s[4:5], v[252:253]
	s_cbranch_execz .LBB0_23
; %bb.1:
	v_mul_lo_u16 v1, 0xaa, v1
	s_clause 0x1
	s_load_b64 s[12:13], s[0:1], 0x0
	s_load_b64 s[14:15], s[0:1], 0x38
	s_delay_alu instid0(VALU_DEP_1) | instskip(NEXT) | instid1(VALU_DEP_1)
	v_sub_nc_u16 v0, v0, v1
	v_and_b32_e32 v60, 0xffff, v0
	v_cmp_gt_u16_e32 vcc_lo, 0x78, v0
	s_delay_alu instid0(VALU_DEP_2)
	v_lshlrev_b32_e32 v59, 2, v60
	v_or_b32_e32 v251, 0x780, v60
	s_and_saveexec_b32 s3, vcc_lo
	s_cbranch_execz .LBB0_3
; %bb.2:
	s_load_b64 s[4:5], s[0:1], 0x18
	v_add_nc_u32_e32 v37, 0xa00, v59
	v_add_nc_u32_e32 v39, 0x1200, v59
	;; [unrolled: 1-line block ×5, first 2 shown]
	s_wait_kmcnt 0x0
	s_load_b128 s[8:11], s[4:5], 0x0
	s_clause 0x7
	global_load_b32 v10, v59, s[12:13]
	global_load_b32 v11, v59, s[12:13] offset:480
	global_load_b32 v12, v59, s[12:13] offset:960
	;; [unrolled: 1-line block ×7, first 2 shown]
	s_wait_kmcnt 0x0
	v_mad_co_u64_u32 v[0:1], null, s10, v252, 0
	v_mad_co_u64_u32 v[2:3], null, s8, v60, 0
	;; [unrolled: 1-line block ×3, first 2 shown]
	s_mul_u64 s[4:5], s[8:9], 0x1e0
	s_delay_alu instid0(VALU_DEP_2) | instskip(NEXT) | instid1(VALU_DEP_2)
	v_mad_co_u64_u32 v[6:7], null, s11, v252, v[1:2]
	v_mad_co_u64_u32 v[7:8], null, s9, v60, v[3:4]
	s_delay_alu instid0(VALU_DEP_2) | instskip(SKIP_1) | instid1(VALU_DEP_3)
	v_mad_co_u64_u32 v[8:9], null, s9, v251, v[5:6]
	v_mov_b32_e32 v1, v6
	v_mov_b32_e32 v3, v7
	s_clause 0x7
	global_load_b32 v6, v59, s[12:13] offset:3840
	global_load_b32 v9, v59, s[12:13] offset:4320
	;; [unrolled: 1-line block ×8, first 2 shown]
	v_lshlrev_b64_e32 v[0:1], 2, v[0:1]
	v_mov_b32_e32 v5, v8
	v_lshlrev_b64_e32 v[2:3], 2, v[2:3]
	s_delay_alu instid0(VALU_DEP_3) | instskip(NEXT) | instid1(VALU_DEP_1)
	v_add_co_u32 v8, s2, s6, v0
	v_add_co_ci_u32_e64 v23, s2, s7, v1, s2
	s_delay_alu instid0(VALU_DEP_4) | instskip(NEXT) | instid1(VALU_DEP_3)
	v_lshlrev_b64_e32 v[0:1], 2, v[4:5]
	v_add_co_u32 v2, s2, v8, v2
	s_wait_alu 0xf1ff
	s_delay_alu instid0(VALU_DEP_3) | instskip(NEXT) | instid1(VALU_DEP_3)
	v_add_co_ci_u32_e64 v3, s2, v23, v3, s2
	v_add_co_u32 v0, s2, v8, v0
	s_wait_alu 0xf1ff
	v_add_co_ci_u32_e64 v1, s2, v23, v1, s2
	s_wait_alu 0xfffe
	v_add_co_u32 v4, s2, v2, s4
	s_wait_alu 0xf1ff
	v_add_co_ci_u32_e64 v5, s2, s5, v3, s2
	global_load_b32 v8, v[2:3], off
	global_load_b32 v23, v59, s[12:13] offset:7200
	s_clause 0x1
	global_load_b32 v24, v[0:1], off
	global_load_b32 v26, v[4:5], off
	v_add_co_u32 v0, s2, v4, s4
	s_wait_alu 0xf1ff
	v_add_co_ci_u32_e64 v1, s2, s5, v5, s2
	s_delay_alu instid0(VALU_DEP_2) | instskip(SKIP_1) | instid1(VALU_DEP_2)
	v_add_co_u32 v2, s2, v0, s4
	s_wait_alu 0xf1ff
	v_add_co_ci_u32_e64 v3, s2, s5, v1, s2
	s_clause 0x1
	global_load_b32 v4, v[0:1], off
	global_load_b32 v5, v[2:3], off
	v_add_co_u32 v0, s2, v2, s4
	s_wait_alu 0xf1ff
	v_add_co_ci_u32_e64 v1, s2, s5, v3, s2
	s_delay_alu instid0(VALU_DEP_2) | instskip(SKIP_1) | instid1(VALU_DEP_2)
	v_add_co_u32 v2, s2, v0, s4
	s_wait_alu 0xf1ff
	v_add_co_ci_u32_e64 v3, s2, s5, v1, s2
	global_load_b32 v27, v[0:1], off
	v_add_co_u32 v0, s2, v2, s4
	s_wait_alu 0xf1ff
	v_add_co_ci_u32_e64 v1, s2, s5, v3, s2
	global_load_b32 v28, v[2:3], off
	global_load_b32 v29, v[0:1], off
	v_add_co_u32 v0, s2, v0, s4
	s_wait_alu 0xf1ff
	v_add_co_ci_u32_e64 v1, s2, s5, v1, s2
	s_delay_alu instid0(VALU_DEP_2) | instskip(SKIP_1) | instid1(VALU_DEP_2)
	v_add_co_u32 v2, s2, v0, s4
	s_wait_alu 0xf1ff
	v_add_co_ci_u32_e64 v3, s2, s5, v1, s2
	global_load_b32 v30, v[0:1], off
	v_add_co_u32 v0, s2, v2, s4
	s_wait_alu 0xf1ff
	v_add_co_ci_u32_e64 v1, s2, s5, v3, s2
	;; [unrolled: 13-line block ×3, first 2 shown]
	global_load_b32 v34, v[2:3], off
	v_add_co_u32 v2, s2, v0, s4
	s_wait_alu 0xf1ff
	v_add_co_ci_u32_e64 v3, s2, s5, v1, s2
	global_load_b32 v35, v[0:1], off
	v_add_co_u32 v0, s2, v2, s4
	s_wait_alu 0xf1ff
	v_add_co_ci_u32_e64 v1, s2, s5, v3, s2
	;; [unrolled: 4-line block ×3, first 2 shown]
	global_load_b32 v0, v[0:1], off
	global_load_b32 v1, v[2:3], off
	v_add_nc_u32_e32 v2, 0x200, v59
	v_add_nc_u32_e32 v3, 0x600, v59
	s_wait_loadcnt 0x21
	v_lshrrev_b32_e32 v42, 16, v10
	s_wait_loadcnt 0x20
	v_lshrrev_b32_e32 v43, 16, v11
	;; [unrolled: 2-line block ×17, first 2 shown]
	v_mul_f16_e32 v62, v42, v8
	s_wait_loadcnt 0xf
	v_lshrrev_b32_e32 v64, 16, v24
	s_wait_loadcnt 0xe
	v_mul_f16_e32 v66, v43, v26
	v_mul_f16_e32 v65, v57, v24
	;; [unrolled: 1-line block ×3, first 2 shown]
	v_fma_f16 v61, v10, v61, -v62
	v_lshrrev_b32_e32 v62, 16, v26
	v_mul_f16_e32 v57, v57, v64
	v_fma_f16 v64, v7, v64, -v65
	v_fmac_f16_e32 v42, v10, v8
	v_lshrrev_b32_e32 v63, 16, v23
	v_mul_f16_e32 v8, v43, v62
	v_fma_f16 v10, v11, v62, -v66
	s_wait_loadcnt 0xd
	v_lshrrev_b32_e32 v43, 16, v4
	v_mul_f16_e32 v62, v44, v4
	v_fmac_f16_e32 v57, v7, v24
	v_fmac_f16_e32 v8, v11, v26
	s_wait_loadcnt 0xc
	v_lshrrev_b32_e32 v26, 16, v5
	v_mul_f16_e32 v11, v44, v43
	v_pack_b32_f16 v7, v42, v61
	v_fma_f16 v24, v12, v43, -v62
	v_mul_f16_e32 v42, v45, v5
	v_pack_b32_f16 v8, v8, v10
	v_fmac_f16_e32 v11, v12, v4
	v_mul_f16_e32 v4, v45, v26
	s_wait_loadcnt 0xb
	v_lshrrev_b32_e32 v12, 16, v27
	v_fma_f16 v10, v13, v26, -v42
	v_mul_f16_e32 v26, v46, v27
	ds_store_2addr_b32 v59, v7, v8 offset1:120
	v_pack_b32_f16 v7, v11, v24
	v_fmac_f16_e32 v4, v13, v5
	v_mul_f16_e32 v5, v46, v12
	s_wait_loadcnt 0xa
	v_lshrrev_b32_e32 v8, 16, v28
	v_mul_f16_e32 v11, v47, v28
	v_fma_f16 v12, v14, v12, -v26
	v_pack_b32_f16 v4, v4, v10
	v_fmac_f16_e32 v5, v14, v27
	v_mul_f16_e32 v10, v47, v8
	v_fma_f16 v8, v15, v8, -v11
	s_wait_loadcnt 0x9
	v_lshrrev_b32_e32 v11, 16, v29
	v_mul_f16_e32 v13, v48, v29
	ds_store_2addr_b32 v2, v7, v4 offset0:112 offset1:232
	v_pack_b32_f16 v2, v5, v12
	v_fmac_f16_e32 v10, v15, v28
	v_mul_f16_e32 v4, v48, v11
	s_wait_loadcnt 0x8
	v_lshrrev_b32_e32 v5, 16, v30
	v_mul_f16_e32 v7, v49, v30
	v_fma_f16 v11, v16, v11, -v13
	v_pack_b32_f16 v8, v10, v8
	v_fmac_f16_e32 v4, v16, v29
	v_mul_f16_e32 v10, v49, v5
	v_fma_f16 v5, v17, v5, -v7
	s_wait_loadcnt 0x7
	v_lshrrev_b32_e32 v7, 16, v31
	v_mul_f16_e32 v12, v50, v31
	ds_store_2addr_b32 v3, v2, v8 offset0:96 offset1:216
	v_pack_b32_f16 v2, v4, v11
	v_fmac_f16_e32 v10, v17, v30
	v_mul_f16_e32 v3, v50, v7
	s_wait_loadcnt 0x6
	v_lshrrev_b32_e32 v4, 16, v32
	v_fma_f16 v7, v6, v7, -v12
	v_mul_f16_e32 v8, v51, v32
	v_pack_b32_f16 v5, v10, v5
	v_fmac_f16_e32 v3, v6, v31
	v_mul_f16_e32 v6, v51, v4
	s_wait_loadcnt 0x5
	v_lshrrev_b32_e32 v10, 16, v33
	v_mul_f16_e32 v11, v52, v33
	v_fma_f16 v4, v9, v4, -v8
	v_pack_b32_f16 v3, v3, v7
	v_fmac_f16_e32 v6, v9, v32
	v_mul_f16_e32 v7, v52, v10
	v_fma_f16 v8, v18, v10, -v11
	s_wait_loadcnt 0x4
	v_lshrrev_b32_e32 v9, 16, v34
	v_mul_f16_e32 v10, v53, v34
	v_pack_b32_f16 v4, v6, v4
	v_fmac_f16_e32 v7, v18, v33
	s_wait_loadcnt 0x3
	v_lshrrev_b32_e32 v6, 16, v35
	v_mul_f16_e32 v11, v53, v9
	v_fma_f16 v9, v19, v9, -v10
	v_mul_f16_e32 v10, v54, v35
	s_wait_loadcnt 0x2
	v_lshrrev_b32_e32 v12, 16, v36
	v_pack_b32_f16 v7, v7, v8
	v_mul_f16_e32 v8, v54, v6
	s_wait_loadcnt 0x1
	v_lshrrev_b32_e32 v13, 16, v0
	v_fma_f16 v6, v20, v6, -v10
	v_mul_f16_e32 v10, v55, v36
	s_wait_loadcnt 0x0
	v_lshrrev_b32_e32 v15, 16, v1
	v_mul_f16_e32 v14, v55, v12
	v_mul_f16_e32 v16, v56, v13
	;; [unrolled: 1-line block ×3, first 2 shown]
	v_fma_f16 v10, v21, v12, -v10
	v_mul_f16_e32 v12, v56, v0
	v_mul_f16_e32 v18, v63, v15
	v_fmac_f16_e32 v11, v19, v34
	v_fmac_f16_e32 v8, v20, v35
	v_fmac_f16_e32 v14, v21, v36
	v_fma_f16 v12, v22, v13, -v12
	v_fmac_f16_e32 v16, v22, v0
	v_fma_f16 v0, v23, v15, -v17
	v_fmac_f16_e32 v18, v23, v1
	v_pack_b32_f16 v1, v11, v9
	v_pack_b32_f16 v6, v8, v6
	;; [unrolled: 1-line block ×6, first 2 shown]
	ds_store_2addr_b32 v37, v2, v5 offset0:80 offset1:200
	ds_store_2addr_b32 v38, v3, v4 offset0:64 offset1:184
	;; [unrolled: 1-line block ×5, first 2 shown]
	ds_store_b32 v59, v43 offset:7680
.LBB0_3:
	s_or_b32 exec_lo, exec_lo, s3
	s_clause 0x1
	s_load_b64 s[4:5], s[0:1], 0x20
	s_load_b64 s[2:3], s[0:1], 0x8
	v_mov_b32_e32 v4, 0
                                        ; kill: def $vgpr0 killed $sgpr0 killed $exec
	global_wb scope:SCOPE_SE
	s_wait_dscnt 0x0
	s_wait_kmcnt 0x0
	s_barrier_signal -1
	s_barrier_wait -1
	global_inv scope:SCOPE_SE
                                        ; implicit-def: $vgpr16
                                        ; implicit-def: $vgpr1
                                        ; implicit-def: $vgpr3
                                        ; implicit-def: $vgpr7
                                        ; implicit-def: $vgpr9
                                        ; implicit-def: $vgpr13
                                        ; implicit-def: $vgpr11
                                        ; implicit-def: $vgpr15
                                        ; implicit-def: $vgpr53
	s_and_saveexec_b32 s0, vcc_lo
	s_cbranch_execz .LBB0_5
; %bb.4:
	v_add_nc_u32_e32 v0, 0x200, v59
	v_add_nc_u32_e32 v1, 0x600, v59
	;; [unrolled: 1-line block ×3, first 2 shown]
	ds_load_2addr_b32 v[4:5], v59 offset1:120
	v_add_nc_u32_e32 v3, 0x1600, v59
	ds_load_2addr_b32 v[14:15], v0 offset0:112 offset1:232
	ds_load_2addr_b32 v[10:11], v1 offset0:96 offset1:216
	v_add_nc_u32_e32 v0, 0xe00, v59
	v_add_nc_u32_e32 v1, 0x1200, v59
	;; [unrolled: 1-line block ×3, first 2 shown]
	ds_load_2addr_b32 v[12:13], v2 offset0:80 offset1:200
	ds_load_2addr_b32 v[8:9], v0 offset0:64 offset1:184
	;; [unrolled: 1-line block ×5, first 2 shown]
	ds_load_b32 v16, v59 offset:7680
	s_wait_dscnt 0x7
	v_alignbit_b32 v53, v14, v14, 16
.LBB0_5:
	s_wait_alu 0xfffe
	s_or_b32 exec_lo, exec_lo, s0
	s_wait_dscnt 0x0
	v_pk_add_f16 v14, v5, v16 neg_lo:[0,1] neg_hi:[0,1]
	v_pk_add_f16 v18, v16, v5
	v_pk_add_f16 v19, v53, v1 op_sel:[1,0] op_sel_hi:[0,1] neg_lo:[0,1] neg_hi:[0,1]
	v_pk_add_f16 v17, v1, v53 op_sel:[1,0] op_sel_hi:[0,1]
	v_lshrrev_b32_e32 v82, 16, v4
	v_lshrrev_b32_e32 v92, 16, v14
	v_pk_mul_f16 v38, 0x3b7639e9, v18
	v_lshrrev_b32_e32 v90, 16, v19
	v_lshrrev_b32_e32 v69, 16, v17
	v_pk_mul_f16 v46, 0xbbf7b964, v19
	v_mul_f16_e32 v39, 0xbb29, v92
	v_mul_f16_e32 v45, 0xbbf7, v92
	v_mul_f16_e32 v64, 0xbbb2, v92
	v_mul_f16_e32 v50, 0xb1e1, v90
	v_mul_f16_e32 v67, 0x3836, v90
	v_fmamk_f16 v20, v18, 0x3722, v39
	v_fmamk_f16 v21, v18, 0x2de8, v45
	;; [unrolled: 1-line block ×5, first 2 shown]
	v_add_f16_e32 v23, v20, v4
	v_pk_add_f16 v20, v15, v0 neg_lo:[0,1] neg_hi:[0,1]
	v_add_f16_e32 v27, v21, v4
	v_add_f16_e32 v22, v22, v4
	v_pk_add_f16 v21, v0, v15
	v_mul_f16_e32 v40, 0xba62, v90
	v_lshrrev_b32_e32 v100, 16, v20
	v_add_f16_e32 v27, v30, v27
	v_add_f16_e32 v31, v31, v22
	v_pk_add_f16 v22, v10, v3 neg_lo:[0,1] neg_hi:[0,1]
	v_fmamk_f16 v29, v69, 0xb8d2, v40
	v_mul_f16_e32 v54, 0x3bb2, v100
	v_mul_f16_e32 v48, 0x31e1, v100
	;; [unrolled: 1-line block ×3, first 2 shown]
	v_lshrrev_b32_e32 v105, 16, v22
	v_add_f16_e32 v29, v29, v23
	v_fmamk_f16 v33, v21, 0xb461, v54
	v_pk_add_f16 v23, v3, v10
	v_fmamk_f16 v32, v21, 0xbbdd, v48
	v_fmamk_f16 v34, v21, 0x39e9, v72
	v_mul_f16_e32 v49, 0x3bb2, v105
	v_add_f16_e32 v35, v33, v27
	v_pk_add_f16 v27, v11, v2 neg_lo:[0,1] neg_hi:[0,1]
	v_mul_f16_e32 v73, 0xbb29, v105
	v_add_f16_e32 v32, v32, v29
	v_add_f16_e32 v34, v34, v31
	v_fmamk_f16 v31, v23, 0xb461, v49
	v_lshrrev_b32_e32 v115, 16, v27
	v_mul_f16_e32 v63, 0x35c8, v105
	v_pk_add_f16 v29, v2, v11
	v_fmamk_f16 v37, v23, 0x3722, v73
	v_pk_fma_f16 v24, 0xb964b5c8, v14, v38 op_sel:[0,0,1] op_sel_hi:[1,1,0]
	v_mul_f16_e32 v51, 0x3964, v115
	v_add_f16_e32 v36, v31, v32
	v_fmamk_f16 v32, v23, 0x3b76, v63
	v_pk_add_f16 v31, v12, v7 neg_lo:[0,1] neg_hi:[0,1]
	v_add_f16_e32 v34, v37, v34
	v_mul_f16_e32 v70, 0xbb29, v115
	v_fmamk_f16 v37, v29, 0x39e9, v51
	v_mul_f16_e32 v76, 0xb1e1, v115
	v_pk_fma_f16 v26, 0x2de839e9, v17, v46
	v_pk_mul_f16 v55, 0x3722b8d2, v21
	v_add_f16_e32 v35, v32, v35
	v_lshrrev_b32_e32 v123, 16, v31
	v_fmamk_f16 v41, v29, 0x3722, v70
	v_add_f16_e32 v36, v37, v36
	v_fmamk_f16 v37, v29, 0xbbdd, v76
	v_lshrrev_b32_e32 v44, 16, v24
	v_pk_fma_f16 v30, 0xba62bb29, v20, v55 op_sel:[0,0,1] op_sel_hi:[1,1,0]
	v_pk_mul_f16 v56, 0x2de8bbdd, v23
	v_pk_add_f16 v32, v7, v12
	v_mul_f16_e32 v52, 0xb5c8, v123
	v_add_f16_e32 v35, v41, v35
	v_add_f16_e32 v34, v37, v34
	v_pk_add_f16 v41, v13, v6 neg_lo:[0,1] neg_hi:[0,1]
	v_add_f16_e32 v37, v44, v4
	v_lshrrev_b32_e32 v44, 16, v26
	v_pk_fma_f16 v33, 0xb1e1bbf7, v22, v56 op_sel:[0,0,1] op_sel_hi:[1,1,0]
	v_fmamk_f16 v43, v32, 0x3b76, v52
	v_mul_f16_e32 v77, 0xb836, v123
	v_lshrrev_b32_e32 v137, 16, v41
	v_add_f16_e32 v37, v44, v37
	v_lshrrev_b32_e32 v44, 16, v30
	v_pk_mul_f16 v57, 0xb461bacd, v29
	v_add_f16_e32 v36, v43, v36
	v_pk_add_f16 v43, v6, v13
	v_fmamk_f16 v47, v32, 0xbacd, v77
	v_mul_f16_e64 v68, 0xbbf7, v137
	v_add_f16_e32 v37, v44, v37
	v_lshrrev_b32_e32 v44, 16, v33
	v_pk_fma_f16 v42, 0x3836bbb2, v27, v57 op_sel:[0,0,1] op_sel_hi:[1,1,0]
	v_pk_mul_f16 v62, 0xb8d2b461, v32
	v_mul_f16_e32 v91, 0x3bf7, v123
	v_add_f16_e32 v35, v47, v35
	v_fmamk_f16 v47, v43, 0x2de8, v68
	v_add_f16_e32 v37, v44, v37
	v_pk_add_f16 v44, v8, v9 neg_lo:[0,1] neg_hi:[0,1]
	v_pk_fma_f16 v61, 0x3bb2ba62, v31, v62 op_sel:[0,0,1] op_sel_hi:[1,1,0]
	v_fmamk_f16 v65, v32, 0x2de8, v91
	v_pk_mul_f16 v107, 0xbacd3722, v43
	v_lshrrev_b32_e32 v66, 16, v42
	v_add_f16_e32 v36, v47, v36
	v_mul_f16_e64 v78, 0x3a62, v137
	v_pk_add_f16 v47, v9, v8
	v_lshrrev_b32_e32 v139, 16, v44
	v_add_f16_e32 v34, v65, v34
	v_pk_fma_f16 v65, 0x3b29b836, v41, v107 op_sel:[0,0,1] op_sel_hi:[1,1,0]
	v_add_f16_e32 v37, v66, v37
	v_lshrrev_b32_e32 v66, 16, v61
	v_fmamk_f16 v74, v43, 0xb8d2, v78
	v_pk_mul_f16 v112, 0xbbdd3b76, v47
	v_mul_f16_e64 v95, 0xb5c8, v137
	v_mul_f16_e64 v71, 0xb836, v139
	v_add_f16_e32 v37, v66, v37
	v_lshrrev_b32_e32 v75, 16, v65
	v_pk_fma_f16 v66, 0x35c8b1e1, v44, v112 op_sel:[0,0,1] op_sel_hi:[1,1,0]
	v_add_f16_e32 v74, v74, v35
	v_fmamk_f16 v35, v43, 0x3b76, v95
	v_fmamk_f16 v79, v47, 0xbacd, v71
	v_mul_f16_e64 v81, 0x3964, v139
	v_mul_f16_e32 v28, 0xb5c8, v92
	v_add_f16_e32 v37, v75, v37
	v_lshrrev_b32_e32 v75, 16, v66
	v_mul_f16_e64 v94, 0xba62, v139
	v_add_f16_e32 v80, v35, v34
	v_add_f16_e32 v34, v79, v36
	v_fmamk_f16 v36, v47, 0x39e9, v81
	v_lshrrev_b32_e32 v130, 16, v18
	v_mul_f16_e32 v83, 0xb964, v14
	v_add_f16_e32 v35, v75, v37
	v_fmamk_f16 v75, v47, 0xb8d2, v94
	v_fmamk_f16 v79, v18, 0x3b76, v28
	v_add_f16_e32 v37, v36, v74
	v_mul_f16_e32 v74, 0xb964, v90
	v_fma_f16 v85, v130, 0x39e9, -v83
	v_mul_f16_e32 v84, 0xbbf7, v19
	v_mul_f16_e32 v96, 0xbb29, v14
	v_add_f16_e32 v79, v79, v4
	v_fmamk_f16 v86, v69, 0x39e9, v74
	v_add_f16_e32 v36, v75, v80
	v_add_f16_e32 v75, v85, v82
	v_fma_f16 v80, v17, 0x2de8, -v84
	v_fma_f16 v85, v130, 0x3722, -v96
	v_mul_f16_e32 v97, 0xba62, v19
	v_mul_f16_e32 v116, 0xbbf7, v14
	;; [unrolled: 1-line block ×3, first 2 shown]
	v_add_f16_e32 v79, v86, v79
	v_add_f16_e32 v86, v80, v75
	v_add_f16_e32 v75, v85, v82
	v_fma_f16 v80, v17, 0xb8d2, -v97
	v_fma_f16 v85, v130, 0x2de8, -v116
	v_mul_f16_e32 v118, 0xb1e1, v19
	v_fma_f16 v87, v130, 0xb461, -v126
	v_mul_f16_e32 v127, 0x3836, v19
	v_add_f16_e32 v88, v80, v75
	v_add_f16_e32 v85, v85, v82
	v_fma_f16 v89, v17, 0xbbdd, -v118
	v_add_f16_e32 v87, v87, v82
	v_fma_f16 v93, v17, 0xbacd, -v127
	v_mul_f16_e32 v75, 0xbb29, v100
	v_lshrrev_b32_e32 v131, 16, v21
	v_mul_f16_e32 v80, 0xba62, v20
	v_mul_f16_e32 v103, 0x31e1, v20
	v_add_f16_e32 v85, v89, v85
	v_add_f16_e32 v87, v93, v87
	v_fmamk_f16 v89, v21, 0x3722, v75
	v_fma_f16 v93, v131, 0xb8d2, -v80
	v_fma_f16 v98, v131, 0xbbdd, -v103
	v_mul_f16_e32 v121, 0x3bb2, v20
	v_mul_f16_e64 v134, 0x3964, v20
	v_add_f16_e32 v89, v89, v79
	v_add_f16_e32 v93, v93, v86
	;; [unrolled: 1-line block ×3, first 2 shown]
	v_fma_f16 v98, v131, 0xb461, -v121
	v_fma_f16 v99, v131, 0x39e9, -v134
	v_mul_f16_e32 v79, 0xbbf7, v105
	v_lshrrev_b32_e32 v129, 16, v23
	v_mul_f16_e32 v86, 0xb1e1, v22
	v_mul_f16_e32 v113, 0x3bb2, v22
	v_add_f16_e32 v98, v98, v85
	v_add_f16_e32 v87, v99, v87
	v_fmamk_f16 v85, v23, 0x2de8, v79
	v_fma_f16 v99, v129, 0xbbdd, -v86
	v_fma_f16 v101, v129, 0xb461, -v113
	v_mul_f16_e32 v122, 0x35c8, v22
	v_mul_f16_e64 v138, 0xbb29, v22
	v_add_f16_e32 v89, v85, v89
	v_add_f16_e32 v93, v99, v93
	;; [unrolled: 1-line block ×3, first 2 shown]
	v_fma_f16 v101, v129, 0x3b76, -v122
	v_fma_f16 v102, v129, 0x3722, -v138
	v_mul_f16_e32 v85, 0xbbb2, v115
	v_lshrrev_b32_e32 v132, 16, v29
	v_mul_f16_e32 v88, 0x3836, v27
	v_mul_f16_e32 v114, 0x3964, v27
	v_add_f16_e32 v98, v101, v98
	v_fmamk_f16 v101, v29, 0xb461, v85
	v_add_f16_e32 v102, v102, v87
	v_fma_f16 v87, v132, 0xbacd, -v88
	v_fma_f16 v104, v132, 0x39e9, -v114
	v_mul_f16_e32 v124, 0xbb29, v27
	v_mul_f16_e64 v140, 0xb1e1, v27
	v_add_f16_e32 v89, v101, v89
	v_add_f16_e32 v101, v87, v93
	;; [unrolled: 1-line block ×3, first 2 shown]
	v_fma_f16 v104, v132, 0x3722, -v124
	v_mul_f16_e32 v87, 0xba62, v123
	v_fma_f16 v106, v132, 0xbbdd, -v140
	v_lshrrev_b32_e32 v133, 16, v32
	v_mul_f16_e32 v93, 0x3bb2, v31
	v_mul_f16_e32 v117, 0xb5c8, v31
	v_fmamk_f16 v108, v32, 0xb8d2, v87
	v_add_f16_e32 v104, v104, v98
	v_add_f16_e32 v102, v106, v102
	v_fma_f16 v98, v133, 0xb461, -v93
	v_fma_f16 v106, v133, 0x3b76, -v117
	v_mul_f16_e32 v125, 0xb836, v31
	v_mul_f16_e64 v142, 0x3bf7, v31
	v_add_f16_e32 v108, v108, v89
	v_add_f16_e32 v101, v98, v101
	;; [unrolled: 1-line block ×3, first 2 shown]
	v_mul_f16_e64 v89, 0xb836, v137
	v_fma_f16 v99, v133, 0xbacd, -v125
	v_fma_f16 v109, v133, 0x2de8, -v142
	v_lshrrev_b32_e32 v135, 16, v43
	v_mul_f16_e32 v98, 0x3b29, v41
	v_fmamk_f16 v110, v43, 0xbacd, v89
	v_add_f16_e32 v104, v99, v104
	v_mul_f16_e32 v120, 0xbbf7, v41
	v_add_f16_e32 v109, v109, v102
	v_fma_f16 v102, v135, 0x3722, -v98
	v_pk_fma_f16 v99, 0xb964b5c8, v14, v38 op_sel:[0,0,1] op_sel_hi:[1,1,0] neg_lo:[0,1,0] neg_hi:[0,1,0]
	v_add_f16_e64 v145, v110, v108
	v_fma_f16 v38, v135, 0x2de8, -v120
	v_mul_f16_e64 v128, 0x3a62, v41
	v_add_f16_e32 v108, v102, v101
	v_pk_fma_f16 v101, 0x2de839e9, v17, v46 neg_lo:[0,0,1] neg_hi:[0,0,1]
	v_add_f16_e32 v46, v99, v82
	v_add_f16_e32 v38, v38, v106
	v_fma_f16 v106, v135, 0xb8d2, -v128
	v_pk_fma_f16 v102, 0xba62bb29, v20, v55 op_sel:[0,0,1] op_sel_hi:[1,1,0] neg_lo:[0,1,0] neg_hi:[0,1,0]
	v_lshrrev_b32_e32 v141, 16, v47
	v_add_f16_e32 v46, v101, v46
	v_mul_f16_e32 v111, 0x35c8, v44
	v_add_f16_e64 v146, v106, v104
	v_pk_fma_f16 v104, 0xb1e1bbf7, v22, v56 op_sel:[0,0,1] op_sel_hi:[1,1,0] neg_lo:[0,1,0] neg_hi:[0,1,0]
	v_mul_f16_e64 v143, 0xb5c8, v41
	v_add_f16_e32 v46, v102, v46
	v_fma_f16 v56, v141, 0x3b76, -v111
	v_pk_fma_f16 v106, 0x3836bbb2, v27, v57 op_sel:[0,0,1] op_sel_hi:[1,1,0] neg_lo:[0,1,0] neg_hi:[0,1,0]
	v_mul_f16_e32 v119, 0xb836, v44
	v_fma_f16 v55, v135, 0x3b76, -v143
	v_add_f16_e32 v57, v104, v46
	v_add_f16_e32 v46, v56, v108
	v_pk_fma_f16 v108, 0x3bb2ba62, v31, v62 op_sel:[0,0,1] op_sel_hi:[1,1,0] neg_lo:[0,1,0] neg_hi:[0,1,0]
	v_mul_f16_e64 v136, 0x3964, v44
	v_add_f16_e64 v147, v55, v109
	v_add_f16_e32 v56, v106, v57
	v_mul_f16_e64 v144, 0xba62, v44
	v_pk_fma_f16 v109, 0x3b29b836, v41, v107 op_sel:[0,0,1] op_sel_hi:[1,1,0] neg_lo:[0,1,0] neg_hi:[0,1,0]
	v_mul_f16_e64 v110, 0xb1e1, v139
	v_fma_f16 v55, v141, 0xbacd, -v119
	v_add_f16_e32 v56, v108, v56
	v_fma_f16 v57, v141, 0x39e9, -v136
	v_fma_f16 v62, v141, 0xb8d2, -v144
	v_pk_fma_f16 v112, 0x35c8b1e1, v44, v112 op_sel:[0,0,1] op_sel_hi:[1,1,0] neg_lo:[0,1,0] neg_hi:[0,1,0]
	v_fma_f16 v148, 0xbbdd, v47, v110
	v_add_f16_e32 v56, v109, v56
	v_add_f16_e32 v55, v55, v38
	v_add_f16_e64 v57, v57, v146
	v_add_f16_e64 v107, v62, v147
	;; [unrolled: 1-line block ×3, first 2 shown]
	v_add_f16_e32 v56, v112, v56
	v_mul_lo_u16 v58, v60, 17
	global_wb scope:SCOPE_SE
	s_barrier_signal -1
	s_barrier_wait -1
	global_inv scope:SCOPE_SE
	s_and_saveexec_b32 s0, vcc_lo
	s_cbranch_execz .LBB0_7
; %bb.6:
	v_mul_f16_e64 v145, 0xb8d2, v130
	v_mul_f16_e64 v146, 0xb461, v17
	v_mul_f16_e64 v148, 0xba62, v92
	v_mul_f16_e64 v147, 0x3b76, v131
	v_mul_f16_e64 v152, 0x3bb2, v90
	v_fma_f16 v150, 0x3a62, v14, v145
	v_fma_f16 v154, 0xbbb2, v19, v146
	;; [unrolled: 1-line block ×3, first 2 shown]
	v_mul_f16_e64 v149, 0xbacd, v129
	v_mul_f16_e64 v155, 0xb5c8, v100
	v_add_f16_e64 v150, v150, v82
	v_fma_f16 v156, 0xb461, v69, v152
	v_fma_f16 v157, 0x35c8, v20, v147
	v_add_f16_e64 v153, v153, v4
	v_mul_f16_e64 v151, 0x2de8, v132
	v_add_f16_e64 v150, v154, v150
	v_mul_f16_e64 v154, 0xb836, v105
	v_fma_f16 v158, 0x3b76, v21, v155
	v_fma_f16 v159, 0x3836, v22, v149
	v_add_f16_e64 v153, v156, v153
	v_add_f16_e64 v150, v157, v150
	v_mul_f16_e64 v156, 0x3bf7, v115
	v_fma_f16 v157, 0xbacd, v23, v154
	v_fma_f16 v160, 0xbbf7, v27, v151
	v_add_f16_e64 v153, v158, v153
	v_add_f16_e64 v150, v159, v150
	v_mul_f16_e64 v158, 0x39e9, v133
	v_mul_f16_e64 v159, 0xb964, v123
	v_fma_f16 v161, 0x2de8, v29, v156
	v_add_f16_e64 v153, v157, v153
	v_add_f16_e64 v150, v160, v150
	v_fma_f16 v160, 0x3964, v31, v158
	v_mul_f16_e64 v162, 0xbbdd, v135
	v_mul_f16_e64 v165, 0xb1e1, v137
	v_add_f16_e64 v153, v161, v153
	v_fma_f16 v161, 0x39e9, v32, v159
	v_add_f16_e64 v150, v160, v150
	v_fma_f16 v160, 0x31e1, v41, v162
	v_mul_f16_e64 v168, 0x3722, v141
	v_mul_f16_e64 v170, 0x3b29, v139
	v_add_f16_e64 v153, v161, v153
	v_fma_f16 v161, 0xbbdd, v43, v165
	v_add_f16_e64 v150, v160, v150
	v_fma_f16 v160, 0xbb29, v44, v168
	v_mul_f16_e64 v172, 0xb836, v92
	v_mul_f16_e32 v100, 0xbbf7, v100
	v_add_f16_e64 v153, v161, v153
	v_fma_f16 v161, 0x3722, v47, v170
	v_add_f16_e64 v92, v160, v150
	v_fma_f16 v150, 0xbacd, v18, v172
	v_mul_f16_e64 v160, 0x3b29, v90
	v_mul_f16_e64 v157, 0xbacd, v130
	v_add_f16_e64 v90, v161, v153
	v_mul_f16_e32 v105, 0x3a62, v105
	v_add_f16_e64 v150, v150, v4
	v_fma_f16 v153, 0x3722, v69, v160
	v_fma_f16 v163, 0x3836, v14, v157
	v_mul_f16_e64 v164, 0x3722, v17
	v_fmac_f16_e64 v157, 0xb836, v14
	v_mul_f16_e32 v115, 0xb5c8, v115
	v_add_f16_e64 v150, v153, v150
	v_fma_f16 v153, 0x2de8, v21, v100
	v_add_f16_e64 v163, v163, v82
	v_fma_f16 v166, 0xbb29, v19, v164
	v_mul_f16_e64 v167, 0x2de8, v131
	v_add_f16_e64 v157, v157, v82
	v_add_f16_e64 v150, v153, v150
	v_fma_f16 v153, 0xb8d2, v23, v105
	v_fmac_f16_e64 v164, 0x3b29, v19
	v_mul_f16_e32 v123, 0xb1e1, v123
	v_fmac_f16_e64 v145, 0xba62, v14
	v_add_f16_e64 v163, v166, v163
	v_add_f16_e64 v150, v153, v150
	v_fma_f16 v153, 0x3b76, v29, v115
	v_fma_f16 v166, 0x3bf7, v20, v167
	v_add_f16_e64 v157, v164, v157
	v_fmac_f16_e64 v167, 0xbbf7, v20
	v_mul_f16_e64 v137, 0x3964, v137
	v_add_f16_e64 v150, v153, v150
	v_fma_f16 v153, 0xbbdd, v32, v123
	v_add_f16_e64 v145, v145, v82
	v_fmac_f16_e64 v146, 0x3bb2, v19
	v_add_f16_e64 v157, v167, v157
	v_fma_f16 v167, v18, 0xbacd, -v172
	v_add_f16_e64 v150, v153, v150
	v_fma_f16 v153, 0x39e9, v43, v137
	v_add_f16_e64 v145, v146, v145
	v_fmac_f16_e64 v147, 0xb5c8, v20
	v_fma_f16 v160, v69, 0x3722, -v160
	v_fmac_f16_e64 v149, 0xb836, v22
	v_add_f16_e64 v150, v153, v150
	v_add_f16_e64 v153, v167, v4
	;; [unrolled: 1-line block ×3, first 2 shown]
	v_fma_f16 v147, v18, 0xb8d2, -v148
	v_mul_f16_e64 v169, 0xb8d2, v129
	v_fma_f16 v100, v21, 0x2de8, -v100
	v_add_f16_e64 v153, v160, v153
	v_add_f16_e64 v145, v149, v145
	;; [unrolled: 1-line block ×3, first 2 shown]
	v_fma_f16 v149, v69, 0xb461, -v152
	v_add_f16_e64 v163, v166, v163
	v_fma_f16 v166, 0xba62, v22, v169
	v_mul_f16_e64 v171, 0x3b76, v132
	v_add_f16_e64 v100, v100, v153
	v_fma_f16 v105, v23, 0xb8d2, -v105
	v_add_f16_e64 v147, v149, v147
	v_fma_f16 v155, v21, 0x3b76, -v155
	v_add_f16_e64 v163, v166, v163
	v_fma_f16 v166, 0x35c8, v27, v171
	v_mul_f16_e64 v173, 0xbbdd, v133
	v_fmac_f16_e64 v169, 0x3a62, v22
	v_add_f16_e32 v100, v105, v100
	v_fma_f16 v105, v29, 0x3b76, -v115
	v_add_f16_e64 v147, v155, v147
	v_fma_f16 v154, v23, 0xbacd, -v154
	v_add_f16_e64 v163, v166, v163
	v_fma_f16 v166, 0x31e1, v31, v173
	v_add_f16_e64 v157, v169, v157
	v_fmac_f16_e64 v171, 0xb5c8, v27
	v_alignbit_b32 v153, v4, v4, 16
	v_add_f16_e32 v100, v105, v100
	v_fma_f16 v123, v32, 0xbbdd, -v123
	v_fmac_f16_e64 v151, 0x3bf7, v27
	v_add_f16_e64 v147, v154, v147
	v_fma_f16 v154, v29, 0x2de8, -v156
	v_add_f16_e64 v161, v166, v163
	v_mul_f16_e64 v163, 0x39e9, v135
	v_add_f16_e64 v157, v171, v157
	v_fmac_f16_e64 v173, 0xb1e1, v31
	v_mul_f16_e64 v115, 0x39e9, v130
	v_mul_f16_e64 v105, 0x3722, v130
	v_add_f16_e32 v100, v123, v100
	v_mul_f16_e64 v123, 0x2de8, v130
	v_mul_f16_e64 v130, 0xb461, v130
	v_alignbit_b32 v53, v53, v53, 16
	v_add_f16_e64 v145, v151, v145
	v_fmac_f16_e64 v158, 0xb964, v31
	v_add_f16_e64 v147, v154, v147
	v_fma_f16 v159, v32, 0x39e9, -v159
	v_pk_add_f16 v5, v5, v153 op_sel:[0,1] op_sel_hi:[1,0]
	v_fma_f16 v166, 0xb964, v41, v163
	v_add_f16_e64 v157, v173, v157
	v_fmac_f16_e64 v163, 0x3964, v41
	v_add_f16_e64 v145, v158, v145
	v_fmac_f16_e64 v162, 0xb1e1, v41
	v_mul_f16_e64 v154, 0xbacd, v17
	v_add_f16_e64 v147, v159, v147
	v_add_f16_e64 v126, v126, v130
	v_fma_f16 v130, v43, 0xbbdd, -v165
	v_pk_add_f16 v5, v53, v5
	v_add_f16_e64 v157, v163, v157
	v_mul_f16_e64 v146, 0x3722, v18
	v_mul_f16_e64 v152, 0xb461, v18
	v_add_f16_e64 v145, v162, v145
	v_mul_f16_e64 v162, 0xb8d2, v131
	v_mul_f16_e64 v163, 0xbbdd, v131
	v_add_f16_e64 v127, v127, v154
	v_add_f16_e32 v126, v126, v82
	v_add_f16_e64 v130, v130, v147
	v_mul_f16_e64 v147, 0xb461, v131
	v_mul_f16_e64 v131, 0x39e9, v131
	v_pk_add_f16 v5, v15, v5
	v_mul_f16_e64 v149, 0x39e9, v69
	v_mul_f16_e64 v155, 0xb8d2, v69
	;; [unrolled: 1-line block ×3, first 2 shown]
	v_mul_f16_e32 v69, 0xbacd, v69
	v_add_f16_e32 v126, v127, v126
	v_add_f16_e64 v131, v134, v131
	v_mul_f16_e64 v165, 0x3722, v129
	v_sub_f16_e64 v64, v152, v64
	v_sub_f16_e64 v39, v146, v39
	v_pk_add_f16 v5, v10, v5
	v_mul_f16_e64 v164, 0xb461, v141
	v_mul_f16_e64 v159, 0xbbdd, v21
	v_mul_f16_e32 v127, 0x39e9, v21
	v_add_f16_e64 v126, v131, v126
	v_add_f16_e64 v138, v138, v165
	v_sub_f16_e32 v67, v69, v67
	v_mul_f16_e64 v69, 0xbbdd, v132
	v_add_f16_e32 v64, v64, v4
	v_add_f16_e32 v39, v39, v4
	v_sub_f16_e64 v40, v155, v40
	v_pk_add_f16 v5, v11, v5
	v_add_f16_e64 v161, v166, v161
	v_fma_f16 v166, 0x3bb2, v44, v164
	v_mul_f16_e64 v139, 0xbbb2, v139
	v_fmac_f16_e64 v164, 0xbbb2, v44
	v_mul_f16_e64 v160, 0x3b76, v18
	v_mul_f16_e64 v148, 0x2de8, v18
	v_mul_f16_e64 v151, 0x2de8, v17
	v_fma_f16 v137, v43, 0x39e9, -v137
	v_mul_f16_e64 v131, 0xb461, v23
	v_add_f16_e64 v126, v138, v126
	v_mul_f16_e64 v138, 0x3722, v23
	v_add_f16_e64 v69, v140, v69
	v_add_f16_e32 v64, v67, v64
	v_mul_f16_e64 v67, 0x2de8, v133
	v_sub_f16_e32 v72, v127, v72
	v_add_f16_e32 v39, v40, v39
	v_sub_f16_e64 v40, v159, v48
	v_add_f16_e32 v48, v83, v115
	v_pk_add_f16 v5, v12, v5
	v_fma_f16 v167, 0xb461, v47, v139
	v_add_f16_e64 v157, v164, v157
	v_add_f16_e64 v100, v137, v100
	v_fma_f16 v139, v47, 0xb461, -v139
	v_fma_f16 v164, v47, 0x3722, -v170
	v_add_f16_e32 v69, v69, v126
	v_add_f16_e64 v67, v142, v67
	v_add_f16_e32 v64, v72, v64
	v_sub_f16_e64 v73, v138, v73
	v_sub_f16_e64 v45, v148, v45
	v_add_f16_e32 v39, v40, v39
	v_sub_f16_e64 v40, v131, v49
	v_add_f16_e32 v48, v48, v82
	v_add_f16_e64 v49, v84, v151
	v_sub_f16_e64 v10, v160, v28
	v_pk_add_f16 v5, v13, v5
	v_add_f16_e64 v100, v139, v100
	v_mul_f16_e64 v139, 0x3722, v21
	v_add_f16_e64 v130, v164, v130
	v_mul_f16_e64 v164, 0xbbdd, v129
	v_add_f16_e32 v67, v67, v69
	v_mul_f16_e32 v69, 0xbbdd, v29
	v_add_f16_e32 v64, v73, v64
	v_mul_f16_e64 v73, 0xb8d2, v141
	v_add_f16_e32 v45, v45, v4
	v_add_f16_e32 v48, v49, v48
	v_add_f16_e64 v49, v80, v162
	v_add_f16_e32 v4, v10, v4
	v_sub_f16_e64 v10, v149, v74
	v_pk_add_f16 v5, v8, v5
	v_mul_f16_e64 v134, 0x2de8, v23
	v_mul_f16_e64 v127, 0xbacd, v132
	v_sub_f16_e32 v69, v69, v76
	v_add_f16_e64 v73, v144, v73
	v_mul_f16_e64 v144, 0x2de8, v32
	v_add_f16_e32 v15, v49, v48
	v_add_f16_e64 v48, v86, v164
	v_add_f16_e32 v4, v10, v4
	v_sub_f16_e64 v10, v139, v75
	v_pk_add_f16 v5, v9, v5
	v_mul_f16_e64 v140, 0xb461, v29
	v_mul_f16_e64 v72, 0x3b76, v135
	;; [unrolled: 1-line block ×3, first 2 shown]
	v_add_f16_e32 v64, v69, v64
	v_sub_f16_e64 v91, v144, v91
	v_mul_f16_e64 v144, 0x3b76, v43
	v_add_f16_e32 v15, v48, v15
	v_add_f16_e32 v28, v88, v127
	;; [unrolled: 1-line block ×3, first 2 shown]
	v_sub_f16_e64 v10, v134, v79
	v_pk_add_f16 v5, v6, v5
	v_mul_f16_e64 v156, 0xbbdd, v17
	v_add_f16_e64 v72, v143, v72
	v_mul_f16_e64 v143, 0xb8d2, v32
	v_add_f16_e32 v64, v91, v64
	v_mul_f16_e64 v91, 0x3722, v135
	v_sub_f16_e64 v95, v144, v95
	v_add_f16_e32 v11, v28, v15
	v_add_f16_e32 v15, v93, v76
	;; [unrolled: 1-line block ×3, first 2 shown]
	v_sub_f16_e64 v9, v140, v85
	v_pk_add_f16 v5, v7, v5
	v_mul_f16_e64 v165, 0xb461, v129
	v_mul_f16_e64 v129, 0x3b76, v129
	v_add_f16_e32 v67, v72, v67
	v_add_f16_e64 v118, v118, v156
	v_mul_f16_e64 v156, 0xbacd, v43
	v_add_f16_e32 v64, v95, v64
	v_mul_f16_e64 v95, 0x3b76, v141
	v_add_f16_e32 v11, v15, v11
	v_add_f16_e32 v13, v98, v91
	;; [unrolled: 1-line block ×3, first 2 shown]
	v_sub_f16_e64 v6, v143, v87
	v_pk_add_f16 v2, v2, v5
	v_add_f16_e64 v122, v122, v129
	v_mul_f16_e64 v129, 0xb8d2, v47
	v_mul_f16_e32 v126, 0x39e9, v29
	v_add_f16_e32 v116, v116, v123
	v_add_f16_e32 v67, v73, v67
	v_mul_f16_e32 v73, 0xbbdd, v47
	v_add_f16_e32 v8, v13, v11
	v_add_f16_e32 v11, v111, v95
	v_bfi_b32 v10, 0xffff, v24, v99
	v_add_f16_e32 v4, v6, v4
	v_sub_f16_e64 v6, v156, v89
	v_pk_add_f16 v2, v3, v2
	v_mul_f16_e64 v154, 0xb461, v21
	v_sub_f16_e64 v50, v158, v50
	v_sub_f16_e64 v94, v129, v94
	v_mul_f16_e32 v72, 0x3b76, v32
	v_add_f16_e32 v116, v116, v82
	v_add_f16_e32 v39, v40, v39
	v_sub_f16_e32 v40, v126, v51
	v_add_f16_e32 v8, v11, v8
	v_bfi_b32 v11, 0xffff, v26, v101
	v_add_f16_e32 v4, v6, v4
	v_sub_f16_e32 v6, v73, v110
	v_and_b32_e32 v3, 0xffff, v58
	v_pk_add_f16 v10, v10, v153
	v_pk_mul_f16 v18, 0xbbdd, v18 op_sel_hi:[0,1]
	v_pk_add_f16 v0, v0, v2
	v_mul_f16_e64 v137, 0xb8d2, v17
	v_mul_f16_e64 v152, 0x3b76, v23
	v_add_f16_e32 v45, v50, v45
	v_sub_f16_e64 v50, v154, v54
	v_add_f16_e32 v54, v94, v64
	v_add_f16_e32 v64, v96, v105
	v_mul_f16_e64 v144, 0x2de8, v43
	v_add_f16_e32 v116, v118, v116
	v_add_f16_e64 v121, v121, v147
	v_add_f16_e32 v39, v40, v39
	v_sub_f16_e32 v40, v72, v52
	v_bfi_b32 v9, 0xffff, v30, v102
	v_add_f16_e32 v4, v6, v4
	v_lshlrev_b32_e32 v2, 2, v3
	v_pk_add_f16 v3, v11, v10
	v_pk_fma_f16 v6, 0xb1e1, v14, v18 op_sel:[0,0,1] op_sel_hi:[0,1,0] neg_lo:[0,1,0] neg_hi:[0,1,0]
	v_pk_mul_f16 v10, 0x35c8, v19 op_sel_hi:[0,1]
	v_pk_add_f16 v0, v1, v0
	v_pk_fma_f16 v1, 0xb1e1, v14, v18 op_sel:[0,0,1] op_sel_hi:[0,1,0]
	v_mul_f16_e64 v138, 0x3722, v29
	v_add_f16_e32 v45, v50, v45
	v_sub_f16_e64 v50, v152, v63
	v_add_f16_e32 v63, v64, v82
	v_add_f16_e64 v64, v97, v137
	v_add_f16_e32 v116, v121, v116
	v_mul_f16_e32 v121, 0xbacd, v47
	v_add_f16_e32 v39, v40, v39
	v_sub_f16_e64 v40, v144, v68
	v_bfi_b32 v13, 0xffff, v33, v104
	v_pk_add_f16 v3, v9, v3
	v_pk_add_f16 v6, v6, v153
	v_pk_fma_f16 v9, 0x3b76, v17, v10 op_sel_hi:[0,1,1] neg_lo:[0,0,1] neg_hi:[0,0,1]
	v_pk_mul_f16 v11, 0xbacd, v21 op_sel_hi:[0,1]
	v_pk_add_f16 v1, v1, v153
	v_pk_fma_f16 v10, 0x3b76, v17, v10 op_sel_hi:[0,1,1]
	v_mul_f16_e32 v123, 0xbacd, v32
	v_add_f16_e32 v45, v50, v45
	v_sub_f16_e64 v50, v138, v70
	v_add_f16_e32 v63, v64, v63
	v_add_f16_e64 v64, v103, v163
	v_add_f16_e32 v12, v40, v39
	v_sub_f16_e32 v15, v121, v71
	v_bfi_b32 v7, 0xffff, v42, v106
	v_pk_add_f16 v3, v13, v3
	v_pk_add_f16 v6, v9, v6
	v_pk_fma_f16 v9, 0xb836, v20, v11 op_sel:[0,0,1] op_sel_hi:[0,1,0] neg_lo:[0,1,0] neg_hi:[0,1,0]
	v_pk_mul_f16 v13, 0x39e9, v23 op_sel_hi:[0,1]
	v_pk_add_f16 v1, v10, v1
	v_pk_fma_f16 v10, 0xb836, v20, v11 op_sel:[0,0,1] op_sel_hi:[0,1,0]
	v_mul_f16_e64 v142, 0x39e9, v132
	v_mul_f16_e64 v132, 0x3722, v132
	;; [unrolled: 1-line block ×3, first 2 shown]
	v_add_f16_e32 v45, v50, v45
	v_sub_f16_e32 v50, v123, v77
	v_add_f16_e32 v63, v64, v63
	v_add_f16_e64 v64, v113, v165
	v_add_f16_e32 v12, v15, v12
	v_bfi_b32 v15, 0xffff, v61, v108
	v_pk_add_f16 v3, v7, v3
	v_pk_add_f16 v6, v9, v6
	v_pk_fma_f16 v7, 0x3964, v22, v13 op_sel:[0,0,1] op_sel_hi:[0,1,0] neg_lo:[0,1,0] neg_hi:[0,1,0]
	v_pk_mul_f16 v9, 0xb8d2, v29 op_sel_hi:[0,1]
	v_pk_add_f16 v1, v10, v1
	v_pk_fma_f16 v10, 0x3964, v22, v13 op_sel:[0,0,1] op_sel_hi:[0,1,0]
	v_mul_f16_e64 v69, 0x3b76, v133
	v_mul_f16_e64 v133, 0xbacd, v133
	;; [unrolled: 1-line block ×3, first 2 shown]
	v_add_f16_e32 v116, v122, v116
	v_add_f16_e64 v122, v124, v132
	v_add_f16_e32 v45, v50, v45
	v_sub_f16_e64 v50, v147, v78
	v_add_f16_e32 v63, v64, v63
	v_add_f16_e64 v64, v114, v142
	v_bfi_b32 v5, 0xffff, v65, v109
	v_pk_add_f16 v3, v15, v3
	v_pk_add_f16 v6, v7, v6
	v_pk_fma_f16 v7, 0xba62, v27, v9 op_sel:[0,0,1] op_sel_hi:[0,1,0] neg_lo:[0,1,0] neg_hi:[0,1,0]
	v_pk_mul_f16 v11, 0x3722, v32 op_sel_hi:[0,1]
	v_pk_add_f16 v1, v10, v1
	v_pk_fma_f16 v9, 0xba62, v27, v9 op_sel:[0,0,1] op_sel_hi:[0,1,0]
	v_mul_f16_e64 v118, 0x2de8, v135
	v_mul_f16_e64 v135, 0xb8d2, v135
	v_add_f16_e32 v94, v122, v116
	v_add_f16_e64 v96, v125, v133
	v_add_f16_e32 v45, v50, v45
	v_sub_f16_e64 v50, v158, v81
	v_add_f16_e32 v63, v64, v63
	v_add_f16_e32 v64, v117, v69
	v_pk_add_f16 v3, v5, v3
	v_pk_add_f16 v5, v7, v6
	v_pk_fma_f16 v6, 0x3b29, v31, v11 op_sel:[0,0,1] op_sel_hi:[0,1,0] neg_lo:[0,1,0] neg_hi:[0,1,0]
	v_pk_mul_f16 v7, 0xb461, v43 op_sel_hi:[0,1]
	v_pk_add_f16 v1, v9, v1
	v_pk_fma_f16 v9, 0x3b29, v31, v11 op_sel:[0,0,1] op_sel_hi:[0,1,0]
	v_mul_f16_e64 v148, 0xbacd, v141
	v_mul_f16_e64 v141, 0x39e9, v141
	v_add_f16_e32 v94, v96, v94
	v_add_f16_e64 v96, v128, v135
	v_add_f16_e32 v45, v50, v45
	v_add_f16_e32 v50, v64, v63
	;; [unrolled: 1-line block ×3, first 2 shown]
	v_pk_add_f16 v5, v6, v5
	v_pk_fma_f16 v6, 0xbbb2, v41, v7 op_sel:[0,0,1] op_sel_hi:[0,1,0] neg_lo:[0,1,0] neg_hi:[0,1,0]
	v_pk_mul_f16 v10, 0x2de8, v47 op_sel_hi:[0,1]
	v_pk_add_f16 v1, v9, v1
	v_pk_fma_f16 v7, 0xbbb2, v41, v7 op_sel:[0,0,1] op_sel_hi:[0,1,0]
	v_bfi_b32 v24, 0xffff, v66, v112
	v_add_f16_e32 v70, v96, v94
	v_add_f16_e64 v94, v136, v141
	v_add_f16_e32 v50, v63, v50
	v_add_f16_e64 v51, v119, v148
	v_fmac_f16_e64 v168, 0x3b29, v44
	v_pk_add_f16 v5, v6, v5
	v_pk_fma_f16 v6, 0x3bf7, v44, v10 op_sel:[0,0,1] op_sel_hi:[0,1,0] neg_lo:[0,1,0] neg_hi:[0,1,0]
	v_pk_add_f16 v1, v7, v1
	v_pk_fma_f16 v7, 0x3bf7, v44, v10 op_sel:[0,0,1] op_sel_hi:[0,1,0]
	v_pk_add_f16 v3, v24, v3
	v_add_f16_e32 v70, v94, v70
	v_add_f16_e32 v49, v51, v50
	v_add_f16_e64 v145, v168, v145
	v_pk_add_f16 v0, v16, v0
	v_pack_b32_f16 v9, v100, v157
	v_pk_add_f16 v5, v6, v5
	v_pk_add_f16 v1, v7, v1
	v_add_f16_e64 v161, v166, v161
	v_add_f16_e64 v150, v167, v150
	v_alignbit_b32 v8, v8, v3, 16
	v_pack_b32_f16 v3, v4, v3
	v_pack_b32_f16 v4, v45, v70
	;; [unrolled: 1-line block ×5, first 2 shown]
	ds_store_2addr_b32 v2, v0, v9 offset1:7
	v_alignbit_b32 v0, v5, v1, 16
	v_alignbit_b32 v1, v1, v5, 16
	v_pack_b32_f16 v5, v90, v92
	v_pack_b32_f16 v9, v150, v161
	v_perm_b32 v11, v57, v37, 0x5040100
	v_perm_b32 v12, v107, v36, 0x5040100
	v_perm_b32 v13, v46, v35, 0x5040100
	v_perm_b32 v14, v55, v34, 0x5040100
	v_perm_b32 v15, v56, v38, 0x5040100
	ds_store_2addr_b32 v2, v3, v8 offset0:1 offset1:2
	ds_store_2addr_b32 v2, v6, v4 offset0:3 offset1:4
	;; [unrolled: 1-line block ×7, first 2 shown]
	ds_store_b32 v2, v15 offset:64
.LBB0_7:
	s_wait_alu 0xfffe
	s_or_b32 exec_lo, exec_lo, s0
	v_add_co_u32 v0, null, 0xaa, v60
	v_and_b32_e32 v5, 0xff, v60
	v_add_co_u32 v14, null, 0x154, v60
	s_delay_alu instid0(VALU_DEP_3) | instskip(SKIP_1) | instid1(VALU_DEP_3)
	v_and_b32_e32 v2, 0xffff, v0
	s_load_b128 s[4:7], s[4:5], 0x0
	v_mul_lo_u16 v1, 0xf1, v5
	s_delay_alu instid0(VALU_DEP_3)
	v_and_b32_e32 v3, 0xffff, v14
	global_wb scope:SCOPE_SE
	s_wait_dscnt 0x0
	v_mul_u32_u24_e32 v26, 0xf0f1, v2
	s_wait_kmcnt 0x0
	s_barrier_signal -1
	v_lshrrev_b16 v15, 12, v1
	v_mul_u32_u24_e32 v27, 0xf0f1, v3
	s_barrier_wait -1
	v_lshrrev_b32_e32 v28, 20, v26
	global_inv scope:SCOPE_SE
	v_mul_lo_u16 v1, v15, 17
	v_lshrrev_b32_e32 v29, 20, v27
	v_add_co_u32 v33, null, 0x1fe, v60
	v_mul_lo_u16 v2, v28, 17
	s_delay_alu instid0(VALU_DEP_4) | instskip(NEXT) | instid1(VALU_DEP_4)
	v_sub_nc_u16 v1, v60, v1
	v_mul_lo_u16 v3, v29, 17
	v_lshrrev_b32_e32 v48, 22, v27
	v_and_b32_e32 v15, 0xffff, v15
	v_sub_nc_u16 v31, v0, v2
	v_and_b32_e32 v30, 0xff, v1
	v_sub_nc_u16 v32, v14, v3
	v_lshrrev_b32_e32 v47, 22, v26
	v_mul_u32_u24_e32 v15, 0x44, v15
	v_mul_lo_u16 v3, v31, 12
	v_mad_co_u64_u32 v[1:2], null, v30, 12, s[2:3]
	v_mul_lo_u16 v4, v32, 12
	s_delay_alu instid0(VALU_DEP_4) | instskip(NEXT) | instid1(VALU_DEP_4)
	v_add_lshl_u32 v92, v15, v30, 2
	v_and_b32_e32 v3, 0xffff, v3
	v_mad_u16 v15, 0x44, v29, v32
	v_mul_lo_u16 v27, 0x44, v47
	v_and_b32_e32 v4, 0xffff, v4
	global_load_b96 v[22:24], v[1:2], off
	v_add_co_u32 v1, s0, s2, v3
	s_wait_alu 0xf1ff
	v_add_co_ci_u32_e64 v2, null, s3, 0, s0
	v_add_co_u32 v3, s0, s2, v4
	s_wait_alu 0xf1ff
	v_add_co_ci_u32_e64 v4, null, s3, 0, s0
	s_clause 0x1
	global_load_b96 v[19:21], v[1:2], off
	global_load_b96 v[16:18], v[3:4], off
	v_and_b32_e32 v1, 0xffff, v60
	v_mul_lo_u16 v4, 0x79, v5
	v_and_b32_e32 v5, 0xffff, v33
	v_sub_nc_u16 v51, v0, v27
	v_and_b32_e32 v15, 0xffff, v15
	v_lshlrev_b32_e32 v61, 2, v1
	v_lshrrev_b16 v43, 13, v4
	v_mul_u32_u24_e32 v44, 0xf0f1, v5
                                        ; implicit-def: $vgpr113
                                        ; implicit-def: $vgpr117
                                        ; implicit-def: $vgpr118
	s_delay_alu instid0(VALU_DEP_4) | instskip(NEXT) | instid1(VALU_DEP_4)
	v_lshlrev_b32_e32 v93, 2, v15
	v_add_nc_u32_e32 v39, 0x400, v61
	v_add_nc_u32_e32 v1, 0xf00, v61
	;; [unrolled: 1-line block ×5, first 2 shown]
	ds_load_2addr_b32 v[2:3], v61 offset1:170
	ds_load_2addr_b32 v[4:5], v39 offset0:84 offset1:254
	ds_load_2addr_b32 v[6:7], v1 offset0:60 offset1:230
	;; [unrolled: 1-line block ×5, first 2 shown]
	v_mul_lo_u16 v45, 0x44, v43
	v_lshrrev_b32_e32 v44, 22, v44
	global_wb scope:SCOPE_SE
	s_wait_loadcnt_dscnt 0x0
	s_barrier_signal -1
	s_barrier_wait -1
	v_sub_nc_u16 v26, v60, v45
	v_mul_lo_u16 v45, 0x44, v48
	v_mul_lo_u16 v49, 0x44, v44
	global_inv scope:SCOPE_SE
	v_add_nc_u32_e32 v110, 0x600, v61
	v_and_b32_e32 v50, 0xff, v26
	v_sub_nc_u16 v45, v14, v45
	v_mad_u16 v14, 0x44, v28, v31
	v_sub_nc_u16 v49, v33, v49
	v_lshlrev_b16 v26, 3, v51
	v_lshrrev_b32_e32 v30, 16, v5
	v_lshrrev_b32_e32 v31, 16, v6
	;; [unrolled: 1-line block ×12, first 2 shown]
	v_lshlrev_b16 v27, 3, v45
	v_lshlrev_b16 v29, 3, v49
	v_and_b32_e32 v14, 0xffff, v14
	v_and_b32_e32 v26, 0xffff, v26
	v_lshlrev_b32_e32 v28, 3, v50
	v_and_b32_e32 v27, 0xffff, v27
	v_and_b32_e32 v29, 0xffff, v29
	v_lshlrev_b32_e32 v94, 2, v14
	v_add_co_u32 v14, s0, s2, v26
	s_wait_alu 0xf1ff
	v_add_co_ci_u32_e64 v15, null, s3, 0, s0
	v_add_co_u32 v26, s0, s2, v27
	s_wait_alu 0xf1ff
	v_add_co_ci_u32_e64 v27, null, s3, 0, s0
	v_add_nc_u32_e32 v111, 0xc00, v61
	v_add_nc_u32_e32 v114, 0x1300, v61
	v_add_nc_u32_e32 v115, 0x1900, v61
	v_lshrrev_b32_e32 v103, 16, v22
	v_lshrrev_b32_e32 v104, 16, v23
	;; [unrolled: 1-line block ×3, first 2 shown]
	s_delay_alu instid0(VALU_DEP_3) | instskip(SKIP_1) | instid1(VALU_DEP_4)
	v_mul_f16_e32 v68, v30, v103
	v_mul_f16_e32 v69, v5, v103
	;; [unrolled: 1-line block ×6, first 2 shown]
	v_lshrrev_b32_e32 v102, 16, v19
	v_lshrrev_b32_e32 v101, 16, v20
	;; [unrolled: 1-line block ×6, first 2 shown]
	v_fma_f16 v5, v5, v22, -v68
	v_fmac_f16_e32 v69, v30, v22
	v_fma_f16 v6, v6, v23, -v70
	v_fmac_f16_e32 v71, v31, v23
	;; [unrolled: 2-line block ×3, first 2 shown]
	v_mul_f16_e32 v30, v53, v102
	v_mul_f16_e32 v31, v10, v102
	;; [unrolled: 1-line block ×12, first 2 shown]
	v_sub_f16_e32 v6, v2, v6
	v_sub_f16_e32 v71, v33, v71
	;; [unrolled: 1-line block ×4, first 2 shown]
	v_fma_f16 v10, v10, v19, -v30
	v_fmac_f16_e32 v31, v53, v19
	v_fma_f16 v7, v7, v20, -v32
	v_fmac_f16_e32 v68, v54, v20
	;; [unrolled: 2-line block ×6, first 2 shown]
	v_fma_f16 v2, v2, 2.0, -v6
	v_fma_f16 v30, v33, 2.0, -v71
	;; [unrolled: 1-line block ×4, first 2 shown]
	v_sub_f16_e32 v33, v6, v76
	v_add_f16_e32 v9, v71, v9
	v_sub_f16_e32 v7, v3, v7
	v_sub_f16_e32 v53, v52, v68
	;; [unrolled: 1-line block ×10, first 2 shown]
	v_fma_f16 v6, v6, 2.0, -v33
	v_fma_f16 v66, v71, 2.0, -v9
	v_pack_b32_f16 v9, v33, v9
	v_fma_f16 v3, v3, 2.0, -v7
	v_fma_f16 v33, v52, 2.0, -v53
	;; [unrolled: 1-line block ×4, first 2 shown]
	v_sub_f16_e32 v52, v7, v54
	v_add_f16_e32 v12, v53, v12
	v_fma_f16 v4, v4, 2.0, -v8
	v_fma_f16 v54, v64, 2.0, -v63
	;; [unrolled: 1-line block ×5, first 2 shown]
	v_pack_b32_f16 v5, v5, v32
	v_sub_f16_e32 v10, v3, v10
	v_sub_f16_e32 v31, v33, v31
	v_sub_f16_e32 v65, v8, v65
	v_add_f16_e32 v13, v63, v13
	v_fma_f16 v30, v30, 2.0, -v32
	v_fma_f16 v32, v53, 2.0, -v12
	v_sub_f16_e32 v11, v4, v11
	v_sub_f16_e32 v53, v54, v64
	v_fma_f16 v7, v7, 2.0, -v52
	ds_store_2addr_b32 v92, v5, v9 offset0:34 offset1:51
	v_fma_f16 v3, v3, 2.0, -v10
	v_fma_f16 v5, v33, 2.0, -v31
	;; [unrolled: 1-line block ×6, first 2 shown]
	v_pack_b32_f16 v6, v6, v66
	v_pack_b32_f16 v2, v2, v30
	;; [unrolled: 1-line block ×10, first 2 shown]
	ds_store_2addr_b32 v92, v2, v6 offset1:17
	ds_store_2addr_b32 v94, v10, v12 offset0:34 offset1:51
	ds_store_2addr_b32 v94, v3, v7 offset1:17
	ds_store_2addr_b32 v93, v4, v8 offset1:17
	ds_store_2addr_b32 v93, v5, v13 offset0:34 offset1:51
	v_add_co_u32 v2, s0, s2, v29
	global_wb scope:SCOPE_SE
	s_wait_dscnt 0x0
	s_barrier_signal -1
	s_barrier_wait -1
	global_inv scope:SCOPE_SE
	global_load_b64 v[32:33], v28, s[2:3] offset:204
	s_wait_alu 0xf1ff
	v_add_co_ci_u32_e64 v3, null, s3, 0, s0
	s_clause 0x2
	global_load_b64 v[30:31], v[14:15], off offset:204
	global_load_b64 v[28:29], v[26:27], off offset:204
	;; [unrolled: 1-line block ×3, first 2 shown]
	v_and_b32_e32 v2, 0xffff, v43
	v_mad_u16 v8, 0xcc, v47, v51
	v_mad_u16 v13, 0xcc, v48, v45
	v_mad_u16 v14, 0xcc, v44, v49
	v_cmp_gt_u16_e64 s0, 34, v60
	v_mul_u32_u24_e32 v12, 0xcc, v2
	ds_load_2addr_b32 v[2:3], v61 offset1:170
	ds_load_2addr_b32 v[4:5], v41 offset0:40 offset1:210
	ds_load_2addr_b32 v[6:7], v40 offset0:80 offset1:250
	v_and_b32_e32 v15, 0xffff, v8
	ds_load_2addr_b32 v[40:41], v39 offset0:84 offset1:254
	ds_load_2addr_b32 v[8:9], v1 offset0:60 offset1:230
	;; [unrolled: 1-line block ×3, first 2 shown]
	v_and_b32_e32 v13, 0xffff, v13
	v_and_b32_e32 v14, 0xffff, v14
	v_add_lshl_u32 v96, v12, v50, 2
	v_lshlrev_b32_e32 v95, 2, v15
	global_wb scope:SCOPE_SE
	s_wait_loadcnt_dscnt 0x0
	v_lshlrev_b32_e32 v91, 2, v13
	v_lshlrev_b32_e32 v90, 2, v14
	s_barrier_signal -1
	s_barrier_wait -1
	global_inv scope:SCOPE_SE
	v_lshrrev_b32_e32 v12, 16, v2
	v_lshrrev_b32_e32 v13, 16, v4
	v_lshrrev_b32_e32 v14, 16, v6
	v_lshrrev_b32_e32 v39, 16, v5
	v_lshrrev_b32_e32 v42, 16, v7
	v_lshrrev_b32_e32 v44, 16, v8
	v_lshrrev_b32_e32 v45, 16, v10
	v_lshrrev_b32_e32 v47, 16, v9
	v_lshrrev_b32_e32 v48, 16, v11
	v_lshrrev_b32_e32 v43, 16, v40
	v_lshrrev_b32_e32 v112, 16, v41
	v_lshrrev_b32_e32 v15, 16, v3
	v_lshrrev_b32_e32 v50, 16, v32
	v_lshrrev_b32_e32 v52, 16, v33
	v_lshrrev_b32_e32 v54, 16, v30
	v_lshrrev_b32_e32 v25, 16, v31
	v_lshrrev_b32_e32 v255, 16, v28
	v_lshrrev_b32_e32 v254, 16, v29
	v_lshrrev_b32_e32 v253, 16, v26
	v_lshrrev_b32_e32 v105, 16, v27
	v_mul_f16_e32 v49, v13, v50
	v_mul_f16_e32 v50, v4, v50
	v_mul_f16_e32 v51, v14, v52
	v_mul_f16_e32 v52, v6, v52
	v_mul_f16_e32 v53, v39, v54
	v_mul_f16_e32 v54, v5, v54
	v_mul_f16_e32 v63, v42, v25
	v_mul_f16_e32 v64, v7, v25
	v_mul_f16_e64 v65, v44, v255
	v_mul_f16_e64 v66, v8, v255
	;; [unrolled: 1-line block ×6, first 2 shown]
	v_mul_f16_e32 v71, v48, v105
	v_mul_f16_e32 v72, v11, v105
	v_fma_f16 v4, v4, v32, -v49
	v_fmac_f16_e32 v50, v13, v32
	v_fma_f16 v6, v6, v33, -v51
	v_fmac_f16_e32 v52, v14, v33
	;; [unrolled: 2-line block ×8, first 2 shown]
	v_add_f16_e32 v14, v4, v6
	v_add_f16_e32 v44, v50, v52
	v_sub_f16_e32 v39, v50, v52
	v_add_f16_e32 v42, v12, v50
	v_add_f16_e32 v47, v5, v7
	;; [unrolled: 1-line block ×6, first 2 shown]
	v_sub_f16_e32 v4, v4, v6
	v_add_f16_e32 v51, v40, v8
	v_add_f16_e32 v63, v43, v66
	;; [unrolled: 1-line block ×3, first 2 shown]
	v_sub_f16_e32 v69, v70, v72
	v_add_f16_e32 v71, v112, v70
	v_add_f16_e32 v70, v70, v72
	v_fma_f16 v2, -0.5, v14, v2
	v_fmac_f16_e32 v12, -0.5, v44
	v_add_f16_e32 v45, v3, v5
	v_sub_f16_e32 v48, v54, v64
	v_add_f16_e32 v49, v15, v54
	v_sub_f16_e32 v5, v5, v7
	v_fmac_f16_e32 v3, -0.5, v47
	v_fmac_f16_e32 v15, -0.5, v50
	v_sub_f16_e32 v54, v66, v68
	v_sub_f16_e32 v8, v8, v10
	v_add_f16_e32 v6, v13, v6
	v_add_f16_e32 v13, v42, v52
	v_fma_f16 v42, -0.5, v53, v40
	v_fmac_f16_e32 v43, -0.5, v65
	v_add_f16_e32 v66, v41, v9
	v_sub_f16_e32 v9, v9, v11
	v_add_f16_e32 v10, v51, v10
	v_add_f16_e32 v44, v63, v68
	v_fmac_f16_e32 v41, -0.5, v67
	v_fmac_f16_e32 v112, -0.5, v70
	v_fmamk_f16 v47, v39, 0x3aee, v2
	v_fmac_f16_e32 v2, 0xbaee, v39
	v_fmamk_f16 v39, v4, 0xbaee, v12
	v_fmac_f16_e32 v12, 0x3aee, v4
	v_add_f16_e32 v7, v45, v7
	v_add_f16_e32 v14, v49, v64
	v_fmamk_f16 v4, v48, 0x3aee, v3
	v_fmac_f16_e32 v3, 0xbaee, v48
	v_fmamk_f16 v48, v5, 0xbaee, v15
	v_fmac_f16_e32 v15, 0x3aee, v5
	v_fmamk_f16 v5, v54, 0x3aee, v42
	v_fmamk_f16 v49, v8, 0xbaee, v43
	v_add_f16_e32 v11, v66, v11
	v_add_f16_e32 v45, v71, v72
	v_fmac_f16_e32 v42, 0xbaee, v54
	v_fmac_f16_e32 v43, 0x3aee, v8
	v_fmamk_f16 v40, v69, 0x3aee, v41
	v_fmac_f16_e32 v41, 0xbaee, v69
	v_fmamk_f16 v109, v9, 0xbaee, v112
	v_fmac_f16_e32 v112, 0x3aee, v9
	v_pack_b32_f16 v6, v6, v13
	v_pack_b32_f16 v8, v10, v44
	;; [unrolled: 1-line block ×12, first 2 shown]
	ds_store_2addr_b32 v96, v6, v10 offset1:68
	ds_store_b32 v96, v2 offset:544
	ds_store_2addr_b32 v95, v7, v4 offset1:68
	ds_store_b32 v95, v3 offset:544
	;; [unrolled: 2-line block ×4, first 2 shown]
	global_wb scope:SCOPE_SE
	s_wait_dscnt 0x0
	s_barrier_signal -1
	s_barrier_wait -1
	global_inv scope:SCOPE_SE
	ds_load_2addr_b32 v[47:48], v61 offset1:204
	ds_load_2addr_b32 v[53:54], v110 offset0:24 offset1:228
	ds_load_2addr_b32 v[51:52], v111 offset0:48 offset1:252
	;; [unrolled: 1-line block ×4, first 2 shown]
                                        ; implicit-def: $vgpr42
	s_and_saveexec_b32 s1, s0
	s_cbranch_execz .LBB0_9
; %bb.8:
	v_add_nc_u32_e32 v2, 0x200, v61
	v_add_nc_u32_e32 v3, 0x900, v61
	ds_load_2addr_b32 v[34:35], v1 offset0:26 offset1:230
	v_add_nc_u32_e32 v1, 0x1500, v61
	ds_load_2addr_b32 v[40:41], v2 offset0:42 offset1:246
	v_add_nc_u32_e32 v2, 0x1c00, v61
	ds_load_2addr_b32 v[36:37], v3 offset0:2 offset1:206
	ds_load_2addr_b32 v[38:39], v1 offset0:50 offset1:254
	ds_load_2addr_b32 v[42:43], v2 offset0:10 offset1:214
	s_wait_dscnt 0x4
	v_lshrrev_b32_e32 v55, 16, v34
	v_lshrrev_b32_e32 v46, 16, v35
	s_wait_dscnt 0x3
	v_lshrrev_b32_e32 v109, 16, v40
	v_lshrrev_b32_e32 v112, 16, v41
	;; [unrolled: 3-line block ×5, first 2 shown]
.LBB0_9:
	s_wait_alu 0xfffe
	s_or_b32 exec_lo, exec_lo, s1
	v_mad_co_u64_u32 v[1:2], null, v60, 36, s[2:3]
	s_wait_dscnt 0x3
	v_lshrrev_b32_e32 v65, 16, v53
	v_lshrrev_b32_e32 v66, 16, v54
	s_wait_dscnt 0x2
	v_lshrrev_b32_e32 v67, 16, v51
	v_lshrrev_b32_e32 v68, 16, v52
	;; [unrolled: 3-line block ×3, first 2 shown]
	s_clause 0x2
	global_load_b128 v[12:15], v[1:2], off offset:748
	global_load_b128 v[8:11], v[1:2], off offset:764
	global_load_b32 v212, v[1:2], off offset:780
	v_subrev_nc_u32_e32 v1, 34, v60
	s_wait_dscnt 0x0
	v_lshrrev_b32_e32 v71, 16, v44
	v_lshrrev_b32_e32 v72, 16, v45
	v_lshrrev_b32_e32 v108, 16, v47
	v_cndmask_b32_e64 v0, v1, v0, s0
	s_delay_alu instid0(VALU_DEP_1) | instskip(SKIP_1) | instid1(VALU_DEP_2)
	v_mul_i32_i24_e32 v1, 36, v0
	v_mul_hi_i32_i24_e32 v0, 36, v0
	v_add_co_u32 v63, s1, s2, v1
	s_wait_alu 0xf1ff
	s_delay_alu instid0(VALU_DEP_2)
	v_add_co_ci_u32_e64 v64, s1, s3, v0, s1
	s_clause 0x2
	global_load_b128 v[0:3], v[63:64], off offset:748
	global_load_b128 v[4:7], v[63:64], off offset:764
	global_load_b32 v63, v[63:64], off offset:780
	v_lshrrev_b32_e32 v64, 16, v48
	s_wait_loadcnt 0x5
	v_lshrrev_b32_e32 v78, 16, v12
	v_lshrrev_b32_e32 v77, 16, v13
	;; [unrolled: 1-line block ×4, first 2 shown]
	s_wait_loadcnt 0x4
	v_lshrrev_b32_e32 v74, 16, v8
	v_lshrrev_b32_e32 v73, 16, v9
	;; [unrolled: 1-line block ×4, first 2 shown]
	s_wait_loadcnt 0x3
	v_lshrrev_b32_e32 v106, 16, v212
	v_mul_f16_e32 v119, v64, v78
	v_mul_f16_e32 v116, v48, v78
	;; [unrolled: 1-line block ×10, first 2 shown]
	v_mul_f16_e64 v128, v69, v73
	v_mul_f16_e64 v129, v49, v73
	;; [unrolled: 1-line block ×8, first 2 shown]
	v_fma_f16 v48, v48, v12, -v119
	v_fmac_f16_e32 v116, v64, v12
	v_fma_f16 v53, v53, v13, -v120
	v_fmac_f16_e32 v121, v65, v13
	;; [unrolled: 2-line block ×5, first 2 shown]
	v_fma_f16 v49, v49, v9, -v128
	v_fmac_f16_e64 v129, v69, v9
	v_fma_f16 v50, v50, v10, -v130
	v_fmac_f16_e64 v131, v70, v10
	;; [unrolled: 2-line block ×4, first 2 shown]
	s_wait_loadcnt 0x2
	v_lshrrev_b32_e32 v83, 16, v0
	v_lshrrev_b32_e32 v88, 16, v1
	;; [unrolled: 1-line block ×4, first 2 shown]
	s_wait_loadcnt 0x1
	v_lshrrev_b32_e32 v86, 16, v4
	v_lshrrev_b32_e32 v87, 16, v5
	;; [unrolled: 1-line block ×4, first 2 shown]
	s_wait_loadcnt 0x0
	v_lshrrev_b32_e32 v84, 16, v63
	v_add_f16_e32 v119, v47, v53
	v_add_f16_e32 v120, v51, v49
	v_sub_f16_e32 v126, v53, v51
	v_sub_f16_e64 v128, v44, v49
	v_sub_f16_e64 v132, v51, v53
	v_sub_f16_e64 v134, v49, v44
	v_add_f16_e64 v136, v108, v121
	v_add_f16_e64 v137, v125, v129
	;; [unrolled: 1-line block ×9, first 2 shown]
	v_mul_f16_e64 v159, v112, v83
	v_mul_f16_e64 v160, v41, v83
	v_mul_f16_e64 v161, v107, v88
	v_mul_f16_e64 v162, v36, v88
	v_mul_f16_e64 v163, v57, v82
	v_mul_f16_e64 v164, v37, v82
	v_mul_f16_e64 v165, v55, v25
	v_mul_f16_e64 v166, v34, v25
	v_mul_f16_e64 v167, v46, v86
	v_mul_f16_e64 v168, v35, v86
	v_mul_f16_e64 v169, v56, v87
	v_mul_f16_e64 v171, v113, v85
	v_mul_f16_e64 v172, v39, v85
	v_mul_f16_e64 v173, v117, v89
	v_mul_f16_e64 v174, v42, v89
	v_mul_f16_e64 v175, v118, v84
	v_mul_f16_e64 v176, v43, v84
	v_sub_f16_e64 v122, v121, v133
	v_sub_f16_e64 v124, v125, v129
	v_add_f16_e64 v130, v53, v44
	v_sub_f16_e32 v53, v53, v44
	v_sub_f16_e64 v138, v51, v49
	v_sub_f16_e64 v139, v121, v125
	;; [unrolled: 1-line block ×3, first 2 shown]
	v_sub_f16_e32 v121, v125, v121
	v_sub_f16_e64 v142, v129, v133
	v_sub_f16_e64 v145, v123, v135
	v_sub_f16_e64 v146, v127, v131
	v_sub_f16_e64 v147, v54, v52
	v_sub_f16_e64 v150, v52, v54
	v_sub_f16_e64 v151, v50, v45
	v_sub_f16_e32 v54, v54, v45
	v_sub_f16_e64 v154, v52, v50
	v_sub_f16_e64 v155, v123, v127
	;; [unrolled: 1-line block ×3, first 2 shown]
	v_sub_f16_e32 v123, v127, v123
	v_mul_f16_e64 v170, v38, v87
	v_add_f16_e32 v51, v119, v51
	v_fma_f16 v119, -0.5, v120, v47
	v_add_f16_e64 v120, v126, v128
	v_add_f16_e64 v126, v132, v134
	;; [unrolled: 1-line block ×3, first 2 shown]
	v_fma_f16 v128, -0.5, v137, v108
	v_fmac_f16_e64 v108, -0.5, v141
	v_add_f16_e64 v52, v143, v52
	v_fma_f16 v132, -0.5, v144, v48
	v_fmac_f16_e64 v48, -0.5, v149
	v_add_f16_e64 v127, v152, v127
	v_fma_f16 v137, -0.5, v153, v116
	v_fmac_f16_e64 v116, -0.5, v157
	v_fma_f16 v41, v41, v0, -v159
	v_fmac_f16_e64 v160, v112, v0
	v_fma_f16 v36, v36, v1, -v161
	v_fmac_f16_e64 v162, v107, v1
	;; [unrolled: 2-line block ×5, first 2 shown]
	v_fma_f16 v38, v38, v5, -v169
	v_fma_f16 v39, v39, v6, -v171
	v_fmac_f16_e64 v172, v113, v6
	v_fma_f16 v46, v42, v7, -v173
	v_fmac_f16_e64 v174, v117, v7
	;; [unrolled: 2-line block ×3, first 2 shown]
	v_sub_f16_e64 v148, v45, v50
	v_sub_f16_e64 v158, v131, v135
	v_fmac_f16_e64 v47, -0.5, v130
	v_add_f16_e64 v130, v139, v140
	v_add_f16_e64 v121, v121, v142
	;; [unrolled: 1-line block ×4, first 2 shown]
	v_fmac_f16_e64 v170, v56, v5
	v_add_f16_e32 v42, v51, v49
	v_add_f16_e64 v51, v125, v129
	v_fma_f16 v56, 0xbb9c, v53, v128
	v_fmac_f16_e64 v128, 0x3b9c, v53
	v_fma_f16 v57, 0x3b9c, v138, v108
	v_fmac_f16_e64 v108, 0xbb9c, v138
	v_add_f16_e32 v50, v52, v50
	v_fma_f16 v52, 0x3b9c, v145, v132
	v_fmac_f16_e64 v132, 0xbb9c, v145
	v_fma_f16 v107, 0xbb9c, v146, v48
	v_fmac_f16_e64 v48, 0x3b9c, v146
	v_add_f16_e64 v112, v127, v131
	v_fma_f16 v117, 0xbb9c, v54, v137
	v_fmac_f16_e64 v137, 0x3b9c, v54
	v_fma_f16 v118, 0x3b9c, v154, v116
	v_fmac_f16_e64 v116, 0xbb9c, v154
	v_add_f16_e32 v125, v34, v38
	v_sub_f16_e64 v127, v162, v174
	v_sub_f16_e64 v131, v36, v34
	;; [unrolled: 1-line block ×3, first 2 shown]
	v_add_f16_e64 v141, v36, v46
	v_sub_f16_e64 v142, v34, v36
	v_sub_f16_e64 v143, v38, v46
	v_add_f16_e64 v144, v109, v162
	v_sub_f16_e64 v149, v162, v166
	v_add_f16_e64 v151, v162, v174
	;; [unrolled: 2-line block ×3, first 2 shown]
	v_add_f16_e64 v156, v35, v39
	v_add_f16_e64 v162, v37, v43
	;; [unrolled: 1-line block ×7, first 2 shown]
	v_fmamk_f16 v49, v122, 0x3b9c, v119
	v_fmac_f16_e32 v119, 0xbb9c, v122
	v_fmamk_f16 v55, v124, 0xbb9c, v47
	v_fmac_f16_e32 v47, 0x3b9c, v124
	v_add_f16_e32 v113, v40, v36
	v_add_f16_e64 v147, v166, v170
	v_sub_f16_e64 v157, v164, v176
	v_sub_f16_e64 v158, v168, v172
	;; [unrolled: 1-line block ×4, first 2 shown]
	v_sub_f16_e32 v37, v37, v43
	v_sub_f16_e64 v171, v35, v39
	v_add_f16_e64 v51, v51, v133
	v_fmac_f16_e64 v56, 0xb8b4, v138
	v_fmac_f16_e64 v128, 0x38b4, v138
	v_fmac_f16_e32 v57, 0xb8b4, v53
	v_fmac_f16_e32 v108, 0x38b4, v53
	v_add_f16_e32 v45, v50, v45
	v_fmac_f16_e64 v132, 0xb8b4, v146
	v_fmac_f16_e64 v48, 0xb8b4, v145
	v_add_f16_e64 v50, v112, v135
	v_fmac_f16_e64 v117, 0xb8b4, v154
	v_fmac_f16_e64 v137, 0x38b4, v154
	v_fmac_f16_e32 v118, 0xb8b4, v54
	v_fmac_f16_e32 v116, 0x38b4, v54
	v_fma_f16 v133, -0.5, v125, v40
	v_add_f16_e64 v53, v131, v140
	v_fmac_f16_e64 v40, -0.5, v141
	v_add_f16_e64 v54, v142, v143
	v_add_f16_e64 v35, v155, v35
	v_fma_f16 v131, -0.5, v156, v41
	v_fmac_f16_e64 v41, -0.5, v162
	v_add_f16_e64 v141, v167, v168
	v_fma_f16 v142, -0.5, v169, v160
	v_fmac_f16_e64 v160, -0.5, v177
	v_sub_f16_e64 v129, v166, v170
	v_sub_f16_e32 v36, v36, v46
	v_sub_f16_e64 v148, v34, v38
	v_sub_f16_e64 v161, v43, v39
	;; [unrolled: 1-line block ×7, first 2 shown]
	v_add_f16_e32 v44, v42, v44
	v_fmac_f16_e32 v49, 0x38b4, v124
	v_fmac_f16_e32 v119, 0xb8b4, v124
	;; [unrolled: 1-line block ×4, first 2 shown]
	v_fmac_f16_e64 v52, 0x38b4, v146
	v_fmac_f16_e64 v107, 0x38b4, v145
	v_add_f16_e32 v34, v113, v34
	v_add_f16_e64 v122, v144, v166
	v_fma_f16 v135, -0.5, v147, v109
	v_fmac_f16_e64 v56, 0x34f2, v130
	v_fmac_f16_e64 v128, 0x34f2, v130
	v_fmac_f16_e64 v132, 0x34f2, v134
	v_fmac_f16_e64 v48, 0x34f2, v136
	v_fmac_f16_e64 v117, 0x34f2, v139
	v_fmac_f16_e64 v137, 0x34f2, v139
	v_fmac_f16_e32 v118, 0x34f2, v123
	v_fmac_f16_e32 v116, 0x34f2, v123
	v_add_f16_e32 v112, v51, v50
	v_sub_f16_e32 v113, v51, v50
	v_add_f16_e32 v35, v35, v39
	v_fma_f16 v39, 0x3b9c, v157, v131
	v_fmac_f16_e64 v131, 0xbb9c, v157
	v_fma_f16 v130, 0xbb9c, v158, v41
	v_fmac_f16_e64 v41, 0x3b9c, v158
	v_add_f16_e64 v50, v141, v172
	v_fma_f16 v139, 0xbb9c, v37, v142
	v_fmac_f16_e64 v142, 0x3b9c, v37
	v_fma_f16 v141, 0x3b9c, v171, v160
	v_fmac_f16_e64 v160, 0xbb9c, v171
	v_sub_f16_e64 v150, v174, v170
	v_fmac_f16_e64 v109, -0.5, v151
	v_add_f16_e64 v138, v159, v161
	v_add_f16_e64 v140, v163, v165
	;; [unrolled: 1-line block ×4, first 2 shown]
	v_fmac_f16_e32 v49, 0x34f2, v120
	v_fmac_f16_e32 v119, 0x34f2, v120
	;; [unrolled: 1-line block ×6, first 2 shown]
	v_fmac_f16_e64 v52, 0x34f2, v134
	v_fmac_f16_e64 v107, 0x34f2, v136
	v_add_f16_e32 v42, v44, v45
	v_sub_f16_e32 v45, v44, v45
	v_add_f16_e32 v34, v34, v38
	v_fma_f16 v38, 0x3b9c, v127, v133
	v_fmac_f16_e64 v133, 0xbb9c, v127
	v_fma_f16 v123, 0xbb9c, v129, v40
	v_fmac_f16_e64 v40, 0x3b9c, v129
	v_add_f16_e64 v44, v122, v170
	v_fma_f16 v134, 0xbb9c, v36, v135
	v_fmac_f16_e64 v135, 0x3b9c, v36
	v_mul_f16_e32 v120, 0x38b4, v117
	v_mul_f16_e32 v121, 0x3b9c, v118
	;; [unrolled: 1-line block ×3, first 2 shown]
	v_mul_f16_e64 v122, 0x3a79, v132
	v_mul_f16_e32 v126, 0x34f2, v116
	v_mul_f16_e64 v147, 0x3a79, v137
	v_fmac_f16_e64 v39, 0x38b4, v158
	v_fmac_f16_e64 v131, 0xb8b4, v158
	v_fmac_f16_e64 v130, 0x38b4, v157
	v_fmac_f16_e64 v41, 0xb8b4, v157
	v_fmac_f16_e64 v139, 0xb8b4, v171
	v_fmac_f16_e64 v142, 0x38b4, v171
	v_fmac_f16_e64 v141, 0xb8b4, v37
	v_fmac_f16_e64 v160, 0x38b4, v37
	v_sub_f16_e64 v153, v170, v174
	v_add_f16_e64 v124, v149, v150
	v_fma_f16 v136, 0x3b9c, v148, v109
	v_fmac_f16_e64 v109, 0xbb9c, v148
	v_mul_f16_e64 v145, 0xb8b4, v52
	v_mul_f16_e64 v146, 0xbb9c, v107
	v_fmac_f16_e64 v38, 0x38b4, v129
	v_fmac_f16_e64 v133, 0xb8b4, v129
	v_fmac_f16_e32 v123, 0x38b4, v127
	v_fmac_f16_e32 v40, 0xb8b4, v127
	v_fmac_f16_e64 v134, 0xb8b4, v148
	v_fmac_f16_e64 v135, 0x38b4, v148
	v_fmac_f16_e32 v120, 0x3a79, v52
	v_fmac_f16_e32 v121, 0x34f2, v107
	v_fma_f16 v37, v116, 0x3b9c, -v51
	v_fma_f16 v107, v137, 0x38b4, -v122
	;; [unrolled: 1-line block ×4, first 2 shown]
	v_fmac_f16_e64 v39, 0x34f2, v138
	v_fmac_f16_e64 v131, 0x34f2, v138
	v_fmac_f16_e64 v130, 0x34f2, v140
	v_fmac_f16_e64 v41, 0x34f2, v140
	v_fmac_f16_e64 v139, 0x34f2, v143
	v_fmac_f16_e64 v142, 0x34f2, v143
	v_fmac_f16_e64 v141, 0x34f2, v144
	v_fmac_f16_e64 v160, 0x34f2, v144
	v_add_f16_e64 v125, v152, v153
	v_add_f16_e64 v149, v44, v174
	v_fmac_f16_e64 v136, 0xb8b4, v36
	v_fmac_f16_e32 v109, 0x38b4, v36
	v_add_f16_e32 v35, v35, v43
	v_add_f16_e64 v36, v50, v176
	v_fmac_f16_e64 v145, 0x3a79, v117
	v_fmac_f16_e64 v146, 0x34f2, v118
	v_fmac_f16_e32 v38, 0x34f2, v53
	v_fmac_f16_e64 v133, 0x34f2, v53
	v_fmac_f16_e32 v123, 0x34f2, v54
	v_fmac_f16_e32 v40, 0x34f2, v54
	v_fmac_f16_e64 v134, 0x34f2, v124
	v_fmac_f16_e64 v135, 0x34f2, v124
	v_add_f16_e32 v43, v49, v120
	v_add_f16_e32 v50, v55, v121
	;; [unrolled: 1-line block ×5, first 2 shown]
	v_add_f16_e64 v122, v128, v116
	v_sub_f16_e32 v52, v49, v120
	v_sub_f16_e32 v53, v55, v121
	;; [unrolled: 1-line block ×5, first 2 shown]
	v_sub_f16_e64 v118, v128, v116
	v_mul_f16_e64 v37, 0x38b4, v139
	v_mul_f16_e64 v107, 0x3b9c, v141
	v_mul_f16_e32 v47, 0x34f2, v41
	v_mul_f16_e64 v48, 0x3a79, v131
	v_mul_f16_e32 v108, 0xb8b4, v39
	v_mul_f16_e64 v116, 0xbb9c, v130
	v_mul_f16_e64 v49, 0x34f2, v160
	;; [unrolled: 1-line block ×3, first 2 shown]
	v_add_f16_e32 v34, v34, v46
	v_fmac_f16_e64 v136, 0x34f2, v125
	v_fmac_f16_e32 v109, 0x34f2, v125
	v_add_f16_e64 v125, v56, v145
	v_fmac_f16_e32 v37, 0x3a79, v39
	v_fmac_f16_e64 v107, 0x34f2, v130
	v_fma_f16 v39, v160, 0x3b9c, -v47
	v_fma_f16 v128, v142, 0x38b4, -v48
	v_fmac_f16_e64 v108, 0x3a79, v139
	v_fmac_f16_e64 v116, 0x34f2, v141
	v_fma_f16 v41, v41, 0xbb9c, -v49
	v_fma_f16 v137, v131, 0xb8b4, -v117
	v_add_f16_e64 v126, v57, v146
	v_sub_f16_e64 v121, v56, v145
	v_sub_f16_e64 v120, v57, v146
	v_add_f16_e32 v46, v34, v35
	v_add_f16_e32 v47, v38, v37
	;; [unrolled: 1-line block ×4, first 2 shown]
	v_add_f16_e64 v48, v133, v128
	v_add_f16_e64 v132, v149, v36
	;; [unrolled: 1-line block ×6, first 2 shown]
	v_sub_f16_e32 v49, v34, v35
	v_sub_f16_e32 v117, v38, v37
	;; [unrolled: 1-line block ×4, first 2 shown]
	v_sub_f16_e64 v35, v133, v128
	v_sub_f16_e64 v128, v149, v36
	v_sub_f16_e64 v123, v134, v108
	v_sub_f16_e64 v227, v136, v116
	v_sub_f16_e32 v109, v109, v41
	v_sub_f16_e64 v107, v135, v137
	v_pack_b32_f16 v36, v42, v112
	v_pack_b32_f16 v38, v43, v125
	;; [unrolled: 1-line block ×10, first 2 shown]
	ds_store_2addr_b32 v61, v36, v38 offset1:204
	ds_store_2addr_b32 v110, v39, v40 offset0:24 offset1:228
	ds_store_2addr_b32 v111, v41, v116 offset0:48 offset1:252
	ds_store_2addr_b32 v114, v133, v134 offset0:8 offset1:212
	ds_store_2addr_b32 v115, v135, v136 offset0:32 offset1:236
	s_and_saveexec_b32 s1, s0
	s_cbranch_execz .LBB0_11
; %bb.10:
	v_perm_b32 v36, v132, v46, 0x5040100
	v_perm_b32 v38, v131, v47, 0x5040100
	v_add_nc_u32_e32 v39, 0x200, v61
	v_perm_b32 v40, v130, v56, 0x5040100
	v_perm_b32 v41, v129, v57, 0x5040100
	v_add_nc_u32_e32 v110, 0x900, v61
	;; [unrolled: 3-line block ×5, first 2 shown]
	ds_store_2addr_b32 v39, v36, v38 offset0:42 offset1:246
	ds_store_2addr_b32 v110, v40, v41 offset0:2 offset1:206
	;; [unrolled: 1-line block ×5, first 2 shown]
.LBB0_11:
	s_wait_alu 0xfffe
	s_or_b32 exec_lo, exec_lo, s1
	global_wb scope:SCOPE_SE
	s_wait_dscnt 0x0
	s_barrier_signal -1
	s_barrier_wait -1
	global_inv scope:SCOPE_SE
	s_and_saveexec_b32 s1, vcc_lo
	s_cbranch_execz .LBB0_13
; %bb.12:
	global_load_b32 v36, v59, s[12:13] offset:8160
	s_add_nc_u64 s[2:3], s[12:13], 0x1fe0
	s_clause 0xf
	global_load_b32 v116, v59, s[2:3] offset:480
	global_load_b32 v141, v59, s[2:3] offset:960
	;; [unrolled: 1-line block ×16, first 2 shown]
	ds_load_b32 v38, v61
	v_add_nc_u32_e32 v156, 0x400, v59
	v_add_nc_u32_e32 v157, 0x800, v59
	;; [unrolled: 1-line block ×6, first 2 shown]
	s_wait_dscnt 0x0
	v_lshrrev_b32_e32 v39, 16, v38
	s_wait_loadcnt 0xf
	v_lshrrev_b32_e32 v162, 16, v116
	s_wait_loadcnt 0xe
	v_lshrrev_b32_e32 v163, 16, v141
	s_wait_loadcnt 0xd
	v_lshrrev_b32_e32 v164, 16, v142
	s_wait_loadcnt 0xc
	v_lshrrev_b32_e32 v165, 16, v143
	s_wait_loadcnt 0xb
	v_lshrrev_b32_e32 v166, 16, v144
	s_wait_loadcnt 0xa
	v_lshrrev_b32_e32 v167, 16, v145
	s_wait_loadcnt 0x9
	v_lshrrev_b32_e32 v168, 16, v146
	s_wait_loadcnt 0x8
	v_lshrrev_b32_e32 v169, 16, v147
	s_wait_loadcnt 0x7
	v_lshrrev_b32_e32 v170, 16, v148
	s_wait_loadcnt 0x6
	v_lshrrev_b32_e32 v171, 16, v149
	s_wait_loadcnt 0x5
	v_lshrrev_b32_e32 v172, 16, v150
	s_wait_loadcnt 0x4
	v_lshrrev_b32_e32 v173, 16, v151
	v_lshrrev_b32_e32 v40, 16, v36
	s_wait_loadcnt 0x3
	v_lshrrev_b32_e32 v174, 16, v152
	s_wait_loadcnt 0x2
	;; [unrolled: 2-line block ×4, first 2 shown]
	v_lshrrev_b32_e32 v177, 16, v155
	v_mul_f16_e32 v41, v39, v40
	v_mul_f16_e32 v40, v38, v40
	s_delay_alu instid0(VALU_DEP_2) | instskip(NEXT) | instid1(VALU_DEP_2)
	v_fma_f16 v38, v38, v36, -v41
	v_fmac_f16_e32 v40, v39, v36
	v_add_nc_u32_e32 v36, 0x1000, v59
	s_delay_alu instid0(VALU_DEP_2)
	v_pack_b32_f16 v38, v38, v40
	ds_store_b32 v61, v38
	ds_load_2addr_b32 v[38:39], v59 offset0:120 offset1:240
	ds_load_2addr_b32 v[40:41], v156 offset0:104 offset1:224
	;; [unrolled: 1-line block ×8, first 2 shown]
	s_wait_dscnt 0x7
	v_lshrrev_b32_e32 v178, 16, v38
	v_lshrrev_b32_e32 v180, 16, v39
	s_wait_dscnt 0x6
	v_lshrrev_b32_e32 v182, 16, v40
	v_lshrrev_b32_e32 v184, 16, v41
	;; [unrolled: 3-line block ×5, first 2 shown]
	v_mul_f16_e64 v179, v38, v162
	v_mul_f16_e64 v181, v39, v163
	s_wait_dscnt 0x2
	v_lshrrev_b32_e32 v198, 16, v135
	v_lshrrev_b32_e32 v200, 16, v136
	s_wait_dscnt 0x1
	v_lshrrev_b32_e32 v202, 16, v137
	v_lshrrev_b32_e32 v204, 16, v138
	;; [unrolled: 3-line block ×3, first 2 shown]
	v_mul_f16_e64 v162, v178, v162
	v_mul_f16_e64 v163, v180, v163
	;; [unrolled: 1-line block ×24, first 2 shown]
	v_fmac_f16_e64 v179, v178, v116
	v_fmac_f16_e64 v181, v180, v141
	v_mul_f16_e64 v172, v198, v172
	v_mul_f16_e64 v173, v200, v173
	;; [unrolled: 1-line block ×6, first 2 shown]
	v_fma_f16 v38, v38, v116, -v162
	v_fma_f16 v39, v39, v141, -v163
	v_fmac_f16_e64 v183, v182, v142
	v_fmac_f16_e64 v185, v184, v143
	v_fma_f16 v40, v40, v142, -v164
	v_fma_f16 v41, v41, v143, -v165
	v_fmac_f16_e64 v187, v186, v144
	v_fmac_f16_e64 v189, v188, v145
	;; [unrolled: 4-line block ×5, first 2 shown]
	v_fmac_f16_e64 v203, v202, v152
	v_fmac_f16_e64 v205, v204, v153
	;; [unrolled: 1-line block ×4, first 2 shown]
	v_fma_f16 v134, v135, v150, -v172
	v_fma_f16 v135, v136, v151, -v173
	;; [unrolled: 1-line block ×6, first 2 shown]
	v_pack_b32_f16 v38, v38, v179
	v_pack_b32_f16 v39, v39, v181
	;; [unrolled: 1-line block ×16, first 2 shown]
	ds_store_2addr_b32 v59, v38, v39 offset0:120 offset1:240
	ds_store_2addr_b32 v156, v40, v41 offset0:104 offset1:224
	;; [unrolled: 1-line block ×8, first 2 shown]
.LBB0_13:
	s_wait_alu 0xfffe
	s_or_b32 exec_lo, exec_lo, s1
	global_wb scope:SCOPE_SE
	s_wait_dscnt 0x0
	s_barrier_signal -1
	s_barrier_wait -1
	global_inv scope:SCOPE_SE
	s_and_saveexec_b32 s1, vcc_lo
	s_cbranch_execz .LBB0_15
; %bb.14:
	v_add_nc_u32_e32 v36, 0x200, v61
	v_add_nc_u32_e32 v38, 0x600, v61
	v_add_nc_u32_e32 v39, 0xa00, v61
	ds_load_2addr_b32 v[42:43], v61 offset1:120
	ds_load_2addr_b32 v[50:51], v36 offset0:112 offset1:232
	v_add_nc_u32_e32 v36, 0xe00, v61
	ds_load_2addr_b32 v[44:45], v38 offset0:96 offset1:216
	v_add_nc_u32_e32 v38, 0x1200, v61
	;; [unrolled: 2-line block ×4, first 2 shown]
	ds_load_2addr_b32 v[46:47], v38 offset0:48 offset1:168
	ds_load_2addr_b32 v[56:57], v39 offset0:32 offset1:152
	;; [unrolled: 1-line block ×3, first 2 shown]
	ds_load_b32 v117, v61 offset:7680
	s_wait_dscnt 0x8
	v_lshrrev_b32_e32 v112, 16, v42
	v_lshrrev_b32_e32 v125, 16, v43
	s_wait_dscnt 0x7
	v_lshrrev_b32_e32 v126, 16, v50
	v_lshrrev_b32_e32 v124, 16, v51
	;; [unrolled: 3-line block ×8, first 2 shown]
	s_wait_dscnt 0x0
	v_lshrrev_b32_e32 v123, 16, v117
.LBB0_15:
	s_wait_alu 0xfffe
	s_or_b32 exec_lo, exec_lo, s1
	s_delay_alu instid0(VALU_DEP_1)
	v_sub_f16_e64 v220, v125, v123
	v_add_f16_e64 v165, v123, v125
	v_add_f16_e64 v218, v117, v43
	v_sub_f16_e64 v202, v126, v128
	v_sub_f16_e64 v133, v43, v117
	v_mul_f16_e64 v219, 0xb5c8, v220
	v_mul_f16_e64 v224, 0xb964, v220
	;; [unrolled: 1-line block ×4, first 2 shown]
	v_add_f16_e64 v178, v128, v126
	v_fma_f16 v36, v218, 0x3b76, -v219
	v_add_f16_e64 v135, v49, v50
	v_mul_f16_e64 v213, 0xb964, v202
	v_fma_f16 v39, v218, 0x39e9, -v224
	v_mul_f16_e64 v72, 0x3722, v165
	v_add_f16_e32 v36, v42, v36
	v_fma_f16 v40, 0xb964, v133, v215
	v_fma_f16 v114, 0xbbf7, v133, v77
	v_mul_f16_e64 v232, 0xbbb2, v220
	v_sub_f16_e64 v137, v50, v49
	v_mul_f16_e64 v69, 0xbbf7, v202
	v_fma_f16 v140, v135, 0x39e9, -v213
	v_mul_f16_e64 v70, 0x2de8, v178
	v_mul_f16_e64 v144, 0xbbdd, v178
	v_add_f16_e32 v39, v42, v39
	v_fma_f16 v110, 0xbb29, v133, v72
	v_add_f16_e32 v40, v112, v40
	v_add_f16_e32 v114, v112, v114
	v_fma_f16 v115, v218, 0xb461, -v232
	v_fma_f16 v142, v135, 0x2de8, -v69
	v_add_f16_e64 v36, v140, v36
	v_mul_f16_e64 v79, 0xb8d2, v178
	v_fma_f16 v140, 0xbbf7, v137, v70
	v_fma_f16 v146, 0xb1e1, v137, v144
	v_mul_f16_e64 v157, 0x3836, v202
	v_sub_f16_e64 v211, v124, v127
	v_mul_f16_e64 v62, 0x3b76, v165
	v_add_f16_e32 v110, v112, v110
	v_add_f16_e32 v115, v42, v115
	v_add_f16_e64 v39, v142, v39
	v_fma_f16 v142, 0xba62, v137, v79
	v_add_f16_e64 v40, v140, v40
	v_add_f16_e64 v114, v146, v114
	;; [unrolled: 1-line block ×4, first 2 shown]
	v_fma_f16 v146, v135, 0xbacd, -v157
	v_mul_f16_e64 v75, 0xba62, v211
	v_fma_f16 v38, 0xb5c8, v133, v62
	v_mul_f16_e64 v226, 0xbb29, v220
	v_mul_f16_e64 v214, 0x39e9, v178
	v_add_f16_e64 v110, v142, v110
	v_sub_f16_e64 v142, v51, v48
	v_mul_f16_e64 v217, 0xbb29, v211
	v_add_f16_e64 v115, v146, v115
	v_fma_f16 v146, v140, 0xb8d2, -v75
	v_mul_f16_e64 v76, 0xb8d2, v192
	v_mul_f16_e64 v154, 0xb461, v192
	v_add_f16_e32 v38, v112, v38
	v_fma_f16 v41, v218, 0x3722, -v226
	v_mul_f16_e64 v151, 0xb461, v165
	v_fma_f16 v141, 0xb964, v137, v214
	v_mul_f16_e64 v74, 0xba62, v202
	v_fma_f16 v149, v140, 0x3722, -v217
	v_add_f16_e64 v39, v146, v39
	v_mul_f16_e64 v81, 0xbbdd, v192
	v_fma_f16 v146, 0xba62, v142, v76
	v_fma_f16 v155, 0x3bb2, v142, v154
	v_mul_f16_e64 v172, 0x3964, v211
	v_sub_f16_e64 v223, v122, v129
	v_add_f16_e32 v41, v42, v41
	v_fma_f16 v116, 0xbbb2, v133, v151
	v_add_f16_e64 v38, v141, v38
	v_fma_f16 v141, v135, 0xb8d2, -v74
	v_mul_f16_e64 v163, 0xbacd, v178
	v_add_f16_e64 v36, v149, v36
	v_fma_f16 v149, 0x31e1, v142, v81
	v_add_f16_e64 v40, v146, v40
	v_add_f16_e64 v114, v155, v114
	;; [unrolled: 1-line block ×4, first 2 shown]
	v_mul_f16_e64 v225, 0xbbf7, v223
	v_fma_f16 v155, v140, 0x39e9, -v172
	v_mul_f16_e64 v241, 0xb1e1, v223
	v_mul_f16_e64 v228, 0xbbf7, v220
	v_add_f16_e32 v116, v112, v116
	v_add_f16_e64 v41, v141, v41
	v_fma_f16 v147, 0x3836, v137, v163
	v_add_f16_e64 v110, v149, v110
	v_mul_f16_e64 v176, 0x39e9, v192
	v_sub_f16_e64 v149, v44, v57
	v_fma_f16 v158, v146, 0x2de8, -v225
	v_add_f16_e64 v115, v155, v115
	v_fma_f16 v155, v146, 0xbbdd, -v241
	v_mul_f16_e64 v141, 0xbbdd, v207
	v_mul_f16_e64 v160, 0xb461, v207
	;; [unrolled: 1-line block ×3, first 2 shown]
	v_fma_f16 v111, v218, 0x2de8, -v228
	v_mul_f16_e64 v139, 0xb1e1, v202
	v_mul_f16_e64 v221, 0x3722, v192
	v_add_f16_e64 v116, v147, v116
	v_mul_f16_e64 v240, 0x31e1, v211
	v_fma_f16 v156, 0x3964, v142, v176
	v_add_f16_e64 v36, v158, v36
	v_add_f16_e64 v39, v155, v39
	v_fma_f16 v155, 0xb1e1, v149, v141
	v_mul_f16_e64 v171, 0x3b76, v207
	v_fma_f16 v158, 0x3bb2, v149, v160
	v_mul_f16_e64 v186, 0x3722, v207
	v_add_f16_e64 v216, v130, v113
	v_fma_f16 v167, v146, 0x3722, -v184
	v_add_f16_e32 v111, v42, v111
	v_fma_f16 v143, v135, 0xbbdd, -v139
	v_fma_f16 v150, 0xbb29, v142, v221
	v_mul_f16_e64 v152, 0x3bb2, v211
	v_fma_f16 v147, v140, 0xbbdd, -v240
	v_add_f16_e64 v116, v156, v116
	v_mul_f16_e64 v148, 0x3bb2, v223
	v_add_f16_e64 v40, v155, v40
	v_fma_f16 v155, 0x35c8, v149, v171
	v_add_f16_e64 v110, v158, v110
	v_sub_f16_e64 v234, v113, v130
	v_sub_f16_e64 v158, v45, v56
	v_add_f16_e64 v115, v167, v115
	v_fma_f16 v167, 0xbb29, v149, v186
	v_mul_f16_e64 v153, 0xbacd, v216
	v_add_f16_e64 v111, v143, v111
	v_add_f16_e64 v38, v150, v38
	v_fma_f16 v150, v140, 0xb461, -v152
	v_add_f16_e64 v41, v147, v41
	v_mul_f16_e64 v73, 0x2de8, v207
	v_fma_f16 v156, v146, 0xb461, -v148
	v_add_f16_e64 v114, v155, v114
	v_add_f16_e64 v155, v56, v45
	;; [unrolled: 1-line block ×3, first 2 shown]
	v_fma_f16 v167, 0x3836, v158, v153
	v_mul_f16_e64 v161, 0x3964, v234
	v_add_f16_e64 v111, v150, v111
	v_fma_f16 v159, 0xbbf7, v149, v73
	v_mul_f16_e64 v236, 0x35c8, v223
	v_add_f16_e64 v41, v156, v41
	v_mul_f16_e64 v134, 0xb461, v216
	v_mul_f16_e64 v150, 0x3836, v234
	v_add_f16_e64 v40, v167, v40
	v_fma_f16 v167, v155, 0x39e9, -v161
	v_mul_f16_e64 v190, 0xb1e1, v234
	v_add_f16_e64 v38, v159, v38
	v_fma_f16 v159, v146, 0x3b76, -v236
	v_mul_f16_e64 v237, 0xbbb2, v234
	v_fma_f16 v169, 0xbbb2, v158, v134
	v_fma_f16 v170, v155, 0xbacd, -v150
	v_mul_f16_e64 v177, 0xbb29, v234
	v_mul_f16_e64 v183, 0x3722, v216
	v_add_f16_e64 v41, v167, v41
	v_fma_f16 v167, v155, 0xbbdd, -v190
	v_sub_f16_e64 v239, v121, v131
	v_mul_f16_e64 v198, 0xbbdd, v216
	v_add_f16_e64 v111, v159, v111
	v_fma_f16 v168, v155, 0xb461, -v237
	v_add_f16_e64 v38, v169, v38
	v_add_f16_e64 v39, v170, v39
	v_fma_f16 v169, v155, 0x3722, -v177
	v_fma_f16 v170, 0xbb29, v158, v183
	v_add_f16_e64 v230, v131, v121
	v_add_f16_e64 v115, v167, v115
	;; [unrolled: 1-line block ×3, first 2 shown]
	v_mul_f16_e64 v145, 0xba62, v239
	v_fma_f16 v180, 0xb1e1, v158, v198
	v_mul_f16_e64 v162, 0x3bb2, v239
	v_add_f16_e64 v36, v168, v36
	v_mul_f16_e64 v173, 0x39e9, v216
	v_add_f16_e64 v111, v169, v111
	v_add_f16_e64 v114, v170, v114
	v_sub_f16_e64 v169, v52, v47
	v_fma_f16 v181, v167, 0xb8d2, -v145
	v_mul_f16_e64 v166, 0xb461, v230
	v_add_f16_e64 v116, v180, v116
	v_fma_f16 v180, v167, 0xb461, -v162
	v_mul_f16_e64 v170, 0xb5c8, v239
	v_fma_f16 v168, 0x3964, v158, v173
	v_mul_f16_e64 v147, 0xb8d2, v230
	v_add_f16_e64 v36, v181, v36
	v_fma_f16 v181, 0x3bb2, v169, v166
	v_add_f16_e64 v39, v180, v39
	v_mul_f16_e64 v185, 0x3b76, v230
	v_fma_f16 v180, v167, 0x3b76, -v170
	v_mul_f16_e64 v191, 0xbacd, v230
	v_add_f16_e64 v110, v168, v110
	v_fma_f16 v182, 0xba62, v169, v147
	v_add_f16_e64 v40, v181, v40
	v_mul_f16_e64 v188, 0xb836, v239
	v_fma_f16 v181, 0xb5c8, v169, v185
	v_mul_f16_e64 v200, 0x3bf7, v239
	v_add_f16_e64 v41, v180, v41
	v_fma_f16 v180, 0xb836, v169, v191
	v_mul_f16_e64 v203, 0x2de8, v230
	v_sub_f16_e64 v243, v120, v132
	v_add_f16_e64 v38, v182, v38
	v_fma_f16 v182, v167, 0xbacd, -v188
	v_add_f16_e64 v110, v181, v110
	v_fma_f16 v181, v167, 0x2de8, -v200
	v_add_f16_e64 v114, v180, v114
	v_add_f16_e64 v238, v132, v120
	v_fma_f16 v193, 0x3bf7, v169, v203
	v_add_f16_e64 v180, v46, v53
	v_mul_f16_e64 v156, 0xb836, v243
	v_add_f16_e64 v111, v182, v111
	v_add_f16_e64 v115, v181, v115
	v_sub_f16_e64 v182, v53, v46
	v_add_f16_e64 v116, v193, v116
	v_fma_f16 v193, v180, 0xbacd, -v156
	v_mul_f16_e64 v181, 0x3722, v238
	v_mul_f16_e64 v195, 0x2de8, v238
	;; [unrolled: 1-line block ×4, first 2 shown]
	v_add_f16_e64 v36, v193, v36
	v_fma_f16 v193, 0x3b29, v182, v181
	v_mul_f16_e64 v231, 0xbacd, v238
	v_fma_f16 v196, v180, 0x3722, -v179
	v_mul_f16_e64 v201, 0xb8d2, v238
	v_mul_f16_e64 v205, 0xb5c8, v243
	v_add_f16_e64 v40, v193, v40
	v_fma_f16 v193, 0xbbf7, v182, v195
	v_sub_f16_e64 v244, v119, v118
	v_add_f16_e64 v242, v118, v119
	v_fma_f16 v194, 0xb836, v182, v231
	v_mul_f16_e64 v222, 0xbbf7, v243
	v_add_f16_e64 v245, v193, v110
	v_fma_f16 v193, 0xb5c8, v182, v206
	v_add_f16_e64 v39, v196, v39
	v_fma_f16 v196, 0x3a62, v182, v201
	v_fma_f16 v110, v180, 0x3b76, -v205
	v_mul_f16_e64 v168, 0xb1e1, v244
	v_add_f16_e64 v116, v193, v116
	v_add_f16_e64 v193, v55, v54
	v_sub_f16_e64 v197, v54, v55
	v_mul_f16_e64 v175, 0xbbdd, v242
	v_add_f16_e64 v38, v194, v38
	v_fma_f16 v194, v180, 0x2de8, -v222
	v_mul_f16_e64 v199, 0x3a62, v243
	v_add_f16_e64 v246, v196, v114
	v_add_f16_e64 v247, v110, v115
	v_mul_f16_e64 v189, 0x3b76, v242
	v_fma_f16 v110, v193, 0xbbdd, -v168
	v_mul_f16_e64 v235, 0xb836, v244
	v_fma_f16 v114, 0xb1e1, v197, v175
	v_add_f16_e64 v41, v194, v41
	v_fma_f16 v194, v180, 0xb8d2, -v199
	v_mul_f16_e64 v210, 0x35c8, v244
	v_fma_f16 v229, 0x35c8, v197, v189
	v_add_f16_e32 v36, v110, v36
	v_fma_f16 v233, v193, 0xbacd, -v235
	v_add_f16_e64 v174, v114, v38
	v_mul_f16_e64 v196, 0xbacd, v242
	v_mul_f16_e64 v204, 0x3964, v244
	;; [unrolled: 1-line block ×5, first 2 shown]
	v_add_f16_e64 v111, v194, v111
	v_fma_f16 v115, v193, 0x3b76, -v210
	v_add_f16_e64 v208, v229, v40
	v_add_f16_e64 v38, v233, v41
	v_fma_f16 v40, 0xb836, v197, v196
	v_fma_f16 v41, v193, 0x39e9, -v204
	v_fma_f16 v248, 0x3964, v197, v110
	v_fma_f16 v249, v193, 0xb8d2, -v114
	v_fma_f16 v250, 0xba62, v197, v209
	v_add_f16_e32 v39, v115, v39
	v_add_f16_e64 v115, v40, v245
	v_add_f16_e32 v41, v41, v111
	v_add_f16_e64 v111, v248, v246
	v_add_f16_e64 v40, v249, v247
	;; [unrolled: 1-line block ×3, first 2 shown]
	global_wb scope:SCOPE_SE
	s_barrier_signal -1
	s_barrier_wait -1
	global_inv scope:SCOPE_SE
	s_and_saveexec_b32 s1, vcc_lo
	s_cbranch_execz .LBB0_17
; %bb.16:
	v_add_f16_e32 v43, v43, v42
	v_mul_f16_e64 v247, 0x3b29, v137
	v_dual_mov_b32 v136, v103 :: v_dual_mov_b32 v103, v99
	v_mov_b32_e32 v99, v95
	s_delay_alu instid0(VALU_DEP_4)
	v_add_f16_e32 v43, v50, v43
	v_mul_f16_e64 v50, 0xb1e1, v220
	v_fma_f16 v248, 0x3722, v178, v247
	v_mov_b32_e32 v95, v93
	v_mov_b32_e32 v93, v89
	v_add_f16_e32 v43, v51, v43
	v_mul_f16_e64 v51, 0xb836, v220
	v_dual_mov_b32 v89, v86 :: v_dual_mov_b32 v102, v175
	v_mov_b32_e32 v86, v83
	s_delay_alu instid0(VALU_DEP_4) | instskip(SKIP_3) | instid1(VALU_DEP_4)
	v_add_f16_e32 v43, v44, v43
	v_mul_f16_e64 v44, 0xb461, v218
	v_mov_b32_e32 v83, v251
	v_dual_mov_b32 v143, v253 :: v_dual_mov_b32 v108, v107
	v_add_f16_e32 v43, v45, v43
	v_mul_f16_e64 v45, 0x2de8, v218
	v_add_f16_e64 v44, v44, v232
	v_dual_mov_b32 v175, v144 :: v_dual_mov_b32 v194, v161
	s_delay_alu instid0(VALU_DEP_4)
	v_add_f16_e32 v43, v52, v43
	v_mul_f16_e64 v52, 0xba62, v220
	v_add_f16_e64 v45, v45, v228
	v_add_f16_e32 v44, v42, v44
	v_mov_b32_e32 v144, v254
	v_add_f16_e32 v43, v53, v43
	v_fma_f16 v53, v218, 0xbbdd, -v50
	v_fmac_f16_e64 v50, 0xbbdd, v218
	v_add_f16_e32 v45, v42, v45
	v_dual_mov_b32 v187, v69 :: v_dual_mov_b32 v138, v104
	v_add_f16_e32 v43, v54, v43
	v_fma_f16 v54, v218, 0xbacd, -v51
	v_fmac_f16_e64 v51, 0xbacd, v218
	v_add_f16_e32 v53, v42, v53
	v_add_f16_e32 v50, v42, v50
	;; [unrolled: 1-line block ×3, first 2 shown]
	v_fma_f16 v55, v218, 0xb8d2, -v52
	v_fmac_f16_e64 v52, 0xb8d2, v218
	v_add_f16_e32 v54, v42, v54
	v_add_f16_e32 v51, v42, v51
	;; [unrolled: 1-line block ×3, first 2 shown]
	v_mul_f16_e64 v46, 0x3722, v218
	v_add_f16_e32 v55, v42, v55
	v_add_f16_e32 v52, v42, v52
	v_mul_f16_e64 v69, 0x35c8, v137
	v_add_f16_e32 v43, v47, v43
	v_mul_f16_e64 v47, 0x39e9, v218
	v_add_f16_e64 v46, v46, v226
	v_dual_mov_b32 v229, v156 :: v_dual_mov_b32 v104, v100
	s_delay_alu instid0(VALU_DEP_4)
	v_add_f16_e32 v43, v56, v43
	v_mul_f16_e64 v56, 0x3b76, v218
	v_add_f16_e64 v47, v47, v224
	v_add_f16_e32 v46, v42, v46
	v_dual_mov_b32 v159, v72 :: v_dual_mov_b32 v100, v96
	v_add_f16_e32 v43, v57, v43
	v_add_f16_e64 v56, v56, v219
	v_add_f16_e32 v47, v42, v47
	v_dual_mov_b32 v98, v145 :: v_dual_mov_b32 v145, v255
	s_delay_alu instid0(VALU_DEP_4) | instskip(NEXT) | instid1(VALU_DEP_4)
	v_add_f16_e32 v43, v48, v43
	v_add_f16_e32 v25, v42, v56
	v_mul_f16_e64 v48, 0xba62, v133
	v_mul_f16_e64 v56, 0x3bb2, v137
	v_dual_mov_b32 v42, v109 :: v_dual_mov_b32 v109, v173
	scratch_store_b32 off, v25, off offset:12 ; 4-byte Folded Spill
	v_add_f16_e32 v25, v49, v43
	v_fma_f16 v49, 0xb8d2, v165, v48
	v_fma_f16 v57, 0xb461, v178, v56
	v_dual_mov_b32 v173, v139 :: v_dual_mov_b32 v106, v210
	v_mov_b32_e32 v139, v97
	s_delay_alu instid0(VALU_DEP_4)
	v_add_f16_e32 v49, v112, v49
	v_dual_mov_b32 v97, v90 :: v_dual_mov_b32 v156, v70
	v_mov_b32_e32 v90, v252
	s_clause 0x1
	scratch_store_b32 off, v25, off offset:4
	scratch_store_b32 off, v91, off
	v_add_f16_e32 v49, v57, v49
	v_mul_f16_e64 v57, 0x3bb2, v202
	v_dual_mov_b32 v91, v87 :: v_dual_mov_b32 v164, v77
	v_dual_mov_b32 v87, v84 :: v_dual_mov_b32 v84, v58
	s_delay_alu instid0(VALU_DEP_3) | instskip(SKIP_3) | instid1(VALU_DEP_4)
	v_fma_f16 v218, v135, 0xb461, -v57
	v_fma_f16 v70, 0x3b76, v178, v69
	v_dual_mov_b32 v107, v73 :: v_dual_mov_b32 v96, v94
	v_dual_mov_b32 v161, v74 :: v_dual_mov_b32 v94, v92
	v_add_f16_e64 v55, v218, v55
	v_mul_f16_e64 v218, 0xb5c8, v142
	v_dual_mov_b32 v233, v162 :: v_dual_mov_b32 v92, v88
	v_mov_b32_e32 v162, v75
	v_fma_f16 v69, v178, 0x3b76, -v69
	s_delay_alu instid0(VALU_DEP_4)
	v_fma_f16 v219, 0x3b76, v192, v218
	v_fma_f16 v48, v165, 0xb8d2, -v48
	v_fma_f16 v56, v178, 0xb461, -v56
	v_fmac_f16_e64 v57, 0xb461, v135
	v_mov_b32_e32 v210, v134
	v_add_f16_e64 v49, v219, v49
	v_mul_f16_e64 v219, 0xb836, v149
	v_dual_mov_b32 v134, v80 :: v_dual_mov_b32 v43, v168
	v_mov_b32_e32 v168, v79
	v_add_f16_e32 v48, v112, v48
	s_delay_alu instid0(VALU_DEP_4) | instskip(SKIP_3) | instid1(VALU_DEP_4)
	v_fma_f16 v220, 0xbacd, v207, v219
	v_add_f16_e32 v52, v57, v52
	v_mul_f16_e64 v57, 0xbbb2, v133
	v_dual_mov_b32 v88, v85 :: v_dual_mov_b32 v85, v82
	v_add_f16_e64 v49, v220, v49
	v_mul_f16_e64 v220, 0x3bf7, v158
	v_add_f16_e32 v48, v56, v48
	v_fma_f16 v56, v192, 0x3b76, -v218
	v_sub_f16_e64 v57, v151, v57
	s_delay_alu instid0(VALU_DEP_4) | instskip(NEXT) | instid1(VALU_DEP_3)
	v_fma_f16 v224, 0x2de8, v216, v220
	v_add_f16_e32 v48, v56, v48
	v_fma_f16 v56, v207, 0xbacd, -v219
	s_delay_alu instid0(VALU_DEP_3) | instskip(SKIP_1) | instid1(VALU_DEP_3)
	v_add_f16_e64 v49, v224, v49
	v_mul_f16_e64 v224, 0xb964, v169
	v_add_f16_e32 v48, v56, v48
	v_fma_f16 v56, v216, 0x2de8, -v220
	s_delay_alu instid0(VALU_DEP_3) | instskip(NEXT) | instid1(VALU_DEP_2)
	v_fma_f16 v226, 0x39e9, v230, v224
	v_add_f16_e32 v48, v56, v48
	v_fma_f16 v56, v230, 0x39e9, -v224
	s_delay_alu instid0(VALU_DEP_3) | instskip(SKIP_1) | instid1(VALU_DEP_3)
	v_add_f16_e64 v49, v226, v49
	v_mul_f16_e64 v226, 0xb1e1, v182
	v_add_f16_e32 v48, v56, v48
	s_delay_alu instid0(VALU_DEP_2) | instskip(SKIP_1) | instid1(VALU_DEP_2)
	v_fma_f16 v228, 0xbbdd, v238, v226
	v_fma_f16 v56, v238, 0xbbdd, -v226
	v_add_f16_e64 v49, v228, v49
	v_mul_f16_e64 v228, 0xb5c8, v211
	s_delay_alu instid0(VALU_DEP_3) | instskip(NEXT) | instid1(VALU_DEP_2)
	v_add_f16_e32 v48, v56, v48
	v_fma_f16 v232, v140, 0x3b76, -v228
	v_fmac_f16_e64 v228, 0x3b76, v140
	s_delay_alu instid0(VALU_DEP_2) | instskip(SKIP_1) | instid1(VALU_DEP_3)
	v_add_f16_e64 v55, v232, v55
	v_mul_f16_e64 v232, 0xb836, v223
	v_add_f16_e64 v52, v228, v52
	s_delay_alu instid0(VALU_DEP_2) | instskip(SKIP_1) | instid1(VALU_DEP_2)
	v_fma_f16 v245, v146, 0xbacd, -v232
	v_fmac_f16_e64 v232, 0xbacd, v146
	v_add_f16_e64 v55, v245, v55
	v_mul_f16_e64 v245, 0xb836, v133
	s_delay_alu instid0(VALU_DEP_3) | instskip(NEXT) | instid1(VALU_DEP_2)
	v_add_f16_e64 v52, v232, v52
	v_fma_f16 v246, 0xbacd, v165, v245
	s_delay_alu instid0(VALU_DEP_1) | instskip(NEXT) | instid1(VALU_DEP_1)
	v_add_f16_e64 v246, v112, v246
	v_add_f16_e64 v246, v248, v246
	v_mul_f16_e64 v248, 0x3bf7, v234
	s_delay_alu instid0(VALU_DEP_1) | instskip(SKIP_1) | instid1(VALU_DEP_2)
	v_fma_f16 v249, v155, 0x2de8, -v248
	v_fmac_f16_e64 v248, 0x2de8, v155
	v_add_f16_e64 v55, v249, v55
	v_mul_f16_e64 v249, 0xbbf7, v142
	s_delay_alu instid0(VALU_DEP_3) | instskip(NEXT) | instid1(VALU_DEP_2)
	v_add_f16_e64 v52, v248, v52
	v_fma_f16 v250, 0x2de8, v192, v249
	s_delay_alu instid0(VALU_DEP_1) | instskip(SKIP_1) | instid1(VALU_DEP_1)
	v_add_f16_e64 v246, v250, v246
	v_mul_f16_e64 v250, 0xb964, v239
	v_fma_f16 v251, v167, 0x39e9, -v250
	v_fmac_f16_e64 v250, 0x39e9, v167
	s_delay_alu instid0(VALU_DEP_2) | instskip(SKIP_1) | instid1(VALU_DEP_3)
	v_add_f16_e64 v55, v251, v55
	v_mul_f16_e64 v251, 0x3b29, v197
	v_add_f16_e64 v52, v250, v52
	s_delay_alu instid0(VALU_DEP_2) | instskip(SKIP_3) | instid1(VALU_DEP_4)
	v_fma_f16 v252, 0x3722, v242, v251
	v_fma_f16 v56, v242, 0x3722, -v251
	v_mov_b32_e32 v251, v83
	v_dual_mov_b32 v83, v86 :: v_dual_mov_b32 v86, v89
	v_add_f16_e64 v25, v252, v49
	v_mul_f16_e64 v252, 0x3a62, v149
	v_mov_b32_e32 v49, v147
	v_mov_b32_e32 v147, v62
	v_add_f16_e32 v48, v56, v48
	scratch_store_b32 off, v25, off offset:8 ; 4-byte Folded Spill
	v_fma_f16 v253, 0xb8d2, v207, v252
	v_mov_b32_e32 v25, v76
	v_add_f16_e32 v56, v112, v57
	v_mul_f16_e64 v57, 0x3964, v142
	v_mov_b32_e32 v89, v93
	v_add_f16_e64 v246, v253, v246
	v_mul_f16_e64 v253, 0xb1e1, v243
	v_mov_b32_e32 v93, v95
	v_sub_f16_e64 v57, v176, v57
	v_mov_b32_e32 v95, v99
	v_mov_b32_e32 v99, v103
	v_fma_f16 v254, v180, 0xbbdd, -v253
	v_fmac_f16_e64 v253, 0xbbdd, v180
	v_mov_b32_e32 v103, v136
	s_delay_alu instid0(VALU_DEP_3) | instskip(SKIP_1) | instid1(VALU_DEP_4)
	v_add_f16_e64 v55, v254, v55
	v_mul_f16_e64 v254, 0xb5c8, v158
	v_add_f16_e64 v52, v253, v52
	v_mov_b32_e32 v253, v143
	s_delay_alu instid0(VALU_DEP_3) | instskip(NEXT) | instid1(VALU_DEP_1)
	v_fma_f16 v255, 0x3b76, v216, v254
	v_add_f16_e64 v246, v255, v246
	v_mul_f16_e64 v255, 0xb1e1, v169
	s_delay_alu instid0(VALU_DEP_1) | instskip(NEXT) | instid1(VALU_DEP_1)
	v_fma_f16 v58, 0xbbdd, v230, v255
	v_add_f16_e64 v58, v58, v246
	v_mul_f16_e64 v246, 0x3b29, v244
	s_delay_alu instid0(VALU_DEP_1) | instskip(SKIP_1) | instid1(VALU_DEP_2)
	v_fma_f16 v62, v193, 0x3722, -v246
	v_fmac_f16_e64 v246, 0x3722, v193
	v_add_f16_e32 v55, v62, v55
	v_mul_f16_e64 v62, 0x3964, v182
	s_delay_alu instid0(VALU_DEP_3) | instskip(NEXT) | instid1(VALU_DEP_2)
	v_add_f16_e64 v52, v246, v52
	v_fma_f16 v64, 0x39e9, v238, v62
	v_fma_f16 v62, v238, 0x39e9, -v62
	s_delay_alu instid0(VALU_DEP_3) | instskip(NEXT) | instid1(VALU_DEP_3)
	v_pack_b32_f16 v48, v52, v48
	v_add_f16_e32 v58, v64, v58
	v_mul_f16_e64 v64, 0x3b29, v202
	s_delay_alu instid0(VALU_DEP_1) | instskip(SKIP_1) | instid1(VALU_DEP_2)
	v_fma_f16 v65, v135, 0x3722, -v64
	v_fmac_f16_e64 v64, 0x3722, v135
	v_add_f16_e32 v54, v65, v54
	v_mul_f16_e64 v65, 0xbbf7, v211
	s_delay_alu instid0(VALU_DEP_3) | instskip(SKIP_2) | instid1(VALU_DEP_4)
	v_add_f16_e32 v51, v64, v51
	v_fma_f16 v64, v230, 0xbbdd, -v255
	v_mov_b32_e32 v255, v145
	v_fma_f16 v66, v140, 0x2de8, -v65
	v_fmac_f16_e64 v65, 0x2de8, v140
	s_delay_alu instid0(VALU_DEP_2) | instskip(SKIP_1) | instid1(VALU_DEP_3)
	v_add_f16_e32 v54, v66, v54
	v_mul_f16_e64 v66, 0x3a62, v223
	v_add_f16_e32 v51, v65, v51
	v_mul_f16_e64 v65, 0xbbf7, v133
	s_delay_alu instid0(VALU_DEP_3) | instskip(SKIP_1) | instid1(VALU_DEP_3)
	v_fma_f16 v67, v146, 0xb8d2, -v66
	v_fmac_f16_e64 v66, 0xb8d2, v146
	v_sub_f16_e64 v65, v164, v65
	s_delay_alu instid0(VALU_DEP_3) | instskip(SKIP_1) | instid1(VALU_DEP_4)
	v_add_f16_e32 v54, v67, v54
	v_mul_f16_e64 v67, 0xb1e1, v133
	v_add_f16_e32 v51, v66, v51
	v_mul_f16_e64 v66, 0xb1e1, v137
	v_add_f16_e32 v65, v112, v65
	s_delay_alu instid0(VALU_DEP_4) | instskip(SKIP_1) | instid1(VALU_DEP_4)
	v_fma_f16 v68, 0xbbdd, v165, v67
	v_fma_f16 v67, v165, 0xbbdd, -v67
	v_sub_f16_e64 v66, v175, v66
	s_delay_alu instid0(VALU_DEP_3) | instskip(NEXT) | instid1(VALU_DEP_3)
	v_add_f16_e32 v68, v112, v68
	v_add_f16_e32 v67, v112, v67
	s_delay_alu instid0(VALU_DEP_3) | instskip(SKIP_1) | instid1(VALU_DEP_4)
	v_add_f16_e32 v65, v66, v65
	v_mul_f16_e64 v66, 0x3bb2, v142
	v_add_f16_e32 v68, v70, v68
	v_mul_f16_e64 v70, 0xb5c8, v234
	;; [unrolled: 2-line block ×3, first 2 shown]
	v_sub_f16_e64 v66, v154, v66
	s_delay_alu instid0(VALU_DEP_4) | instskip(SKIP_1) | instid1(VALU_DEP_2)
	v_fma_f16 v71, v155, 0x3b76, -v70
	v_fmac_f16_e64 v70, 0x3b76, v155
	v_add_f16_e32 v54, v71, v54
	v_mul_f16_e64 v71, 0xb836, v142
	s_delay_alu instid0(VALU_DEP_3) | instskip(SKIP_1) | instid1(VALU_DEP_3)
	v_add_f16_e32 v51, v70, v51
	v_mul_f16_e64 v70, 0xbbf7, v137
	v_fma_f16 v72, 0xbacd, v192, v71
	v_fma_f16 v71, v192, 0xbacd, -v71
	s_delay_alu instid0(VALU_DEP_3) | instskip(NEXT) | instid1(VALU_DEP_3)
	v_sub_f16_e64 v70, v156, v70
	v_add_f16_e32 v68, v72, v68
	v_mul_f16_e64 v72, 0xb1e1, v239
	s_delay_alu instid0(VALU_DEP_4) | instskip(SKIP_1) | instid1(VALU_DEP_3)
	v_add_f16_e32 v67, v71, v67
	v_mul_f16_e64 v71, 0x3b29, v239
	v_fma_f16 v73, v167, 0xbbdd, -v72
	v_fmac_f16_e64 v72, 0xbbdd, v167
	s_delay_alu instid0(VALU_DEP_2) | instskip(SKIP_1) | instid1(VALU_DEP_3)
	v_add_f16_e32 v54, v73, v54
	v_mul_f16_e64 v73, 0xbbb2, v197
	v_add_f16_e32 v51, v72, v51
	v_add_f16_e32 v72, v125, v112
	s_delay_alu instid0(VALU_DEP_3) | instskip(NEXT) | instid1(VALU_DEP_2)
	v_fma_f16 v74, 0xb461, v242, v73
	v_add_f16_e32 v72, v126, v72
	s_delay_alu instid0(VALU_DEP_2) | instskip(SKIP_1) | instid1(VALU_DEP_1)
	v_add_f16_e32 v58, v74, v58
	v_mul_f16_e64 v74, 0x3964, v149
	v_fma_f16 v75, 0x39e9, v207, v74
	v_fma_f16 v74, v207, 0x39e9, -v74
	s_delay_alu instid0(VALU_DEP_2) | instskip(SKIP_1) | instid1(VALU_DEP_3)
	v_add_f16_e32 v68, v75, v68
	v_mul_f16_e64 v75, 0x3964, v243
	v_add_f16_e32 v67, v74, v67
	v_mul_f16_e64 v74, 0xbbb2, v243
	s_delay_alu instid0(VALU_DEP_3) | instskip(SKIP_1) | instid1(VALU_DEP_2)
	v_fma_f16 v76, v180, 0x39e9, -v75
	v_fmac_f16_e64 v75, 0x39e9, v180
	v_add_f16_e32 v54, v76, v54
	v_mul_f16_e64 v76, 0xba62, v158
	s_delay_alu instid0(VALU_DEP_3) | instskip(NEXT) | instid1(VALU_DEP_2)
	v_add_f16_e32 v51, v75, v51
	v_fma_f16 v77, 0xb8d2, v216, v76
	v_fma_f16 v76, v216, 0xb8d2, -v76
	s_delay_alu instid0(VALU_DEP_2) | instskip(SKIP_1) | instid1(VALU_DEP_3)
	v_add_f16_e32 v68, v77, v68
	v_mul_f16_e64 v77, 0x3b29, v169
	v_add_f16_e32 v67, v76, v67
	v_mul_f16_e64 v76, 0x3bf7, v244
	s_delay_alu instid0(VALU_DEP_3) | instskip(SKIP_1) | instid1(VALU_DEP_2)
	v_fma_f16 v78, 0x3722, v230, v77
	v_fma_f16 v77, v230, 0x3722, -v77
	v_add_f16_e32 v68, v78, v68
	v_mul_f16_e64 v78, 0xbbb2, v244
	s_delay_alu instid0(VALU_DEP_3) | instskip(NEXT) | instid1(VALU_DEP_2)
	v_add_f16_e32 v67, v77, v67
	v_fma_f16 v79, v193, 0xb461, -v78
	v_fmac_f16_e64 v78, 0xb461, v193
	s_delay_alu instid0(VALU_DEP_2) | instskip(SKIP_1) | instid1(VALU_DEP_3)
	v_add_f16_e32 v54, v79, v54
	v_mul_f16_e64 v79, 0xbbb2, v182
	v_add_f16_e32 v51, v78, v51
	s_delay_alu instid0(VALU_DEP_2) | instskip(SKIP_2) | instid1(VALU_DEP_3)
	v_fma_f16 v80, 0xb461, v238, v79
	v_fma_f16 v77, v238, 0xb461, -v79
	v_fma_f16 v79, v178, 0x3722, -v247
	v_add_f16_e32 v68, v80, v68
	v_mul_f16_e64 v80, 0x35c8, v202
	s_delay_alu instid0(VALU_DEP_4) | instskip(SKIP_1) | instid1(VALU_DEP_3)
	v_add_f16_e32 v67, v77, v67
	v_fma_f16 v77, v165, 0xbacd, -v245
	v_fma_f16 v202, v135, 0x3b76, -v80
	v_fmac_f16_e64 v80, 0x3b76, v135
	s_delay_alu instid0(VALU_DEP_3) | instskip(NEXT) | instid1(VALU_DEP_3)
	v_add_f16_e32 v77, v112, v77
	v_add_f16_e64 v53, v202, v53
	v_mul_f16_e64 v202, 0x3bf7, v197
	s_delay_alu instid0(VALU_DEP_4) | instskip(NEXT) | instid1(VALU_DEP_4)
	v_add_f16_e32 v50, v80, v50
	v_add_f16_e32 v77, v79, v77
	v_mov_b32_e32 v80, v134
	s_delay_alu instid0(VALU_DEP_4) | instskip(NEXT) | instid1(VALU_DEP_1)
	v_fma_f16 v82, 0x2de8, v242, v202
	v_add_f16_e32 v68, v82, v68
	v_mul_f16_e64 v82, 0xb836, v211
	s_delay_alu instid0(VALU_DEP_1) | instskip(SKIP_1) | instid1(VALU_DEP_2)
	v_fma_f16 v211, v140, 0xbacd, -v82
	v_fmac_f16_e64 v82, 0xbacd, v140
	v_add_f16_e64 v53, v211, v53
	v_mul_f16_e64 v211, 0x3964, v223
	s_delay_alu instid0(VALU_DEP_3) | instskip(SKIP_2) | instid1(VALU_DEP_4)
	v_add_f16_e32 v50, v82, v50
	v_dual_mov_b32 v82, v85 :: v_dual_mov_b32 v85, v88
	v_mov_b32_e32 v88, v92
	v_fma_f16 v223, v146, 0x39e9, -v211
	v_fmac_f16_e64 v211, 0x39e9, v146
	v_mov_b32_e32 v92, v94
	v_mov_b32_e32 v94, v96
	;; [unrolled: 1-line block ×3, first 2 shown]
	v_add_f16_e64 v53, v223, v53
	v_fma_f16 v223, v155, 0xb8d2, -v69
	v_add_f16_e64 v50, v211, v50
	v_fmac_f16_e64 v69, 0xb8d2, v155
	v_mov_b32_e32 v100, v104
	v_mov_b32_e32 v104, v138
	v_add_f16_e64 v53, v223, v53
	v_fma_f16 v223, v167, 0x3722, -v71
	v_add_f16_e32 v50, v69, v50
	v_fma_f16 v69, v192, 0x2de8, -v249
	v_fmac_f16_e64 v71, 0x3722, v167
	s_delay_alu instid0(VALU_DEP_4) | instskip(SKIP_1) | instid1(VALU_DEP_4)
	v_add_f16_e64 v53, v223, v53
	v_fma_f16 v223, v180, 0xb461, -v74
	v_add_f16_e32 v69, v69, v77
	s_delay_alu instid0(VALU_DEP_4) | instskip(SKIP_4) | instid1(VALU_DEP_4)
	v_add_f16_e32 v50, v71, v50
	v_fma_f16 v71, v207, 0xb8d2, -v252
	v_mov_b32_e32 v252, v90
	v_dual_mov_b32 v90, v97 :: v_dual_mov_b32 v97, v139
	v_fmac_f16_e64 v74, 0xb461, v180
	v_add_f16_e32 v69, v71, v69
	v_fma_f16 v71, v216, 0x3b76, -v254
	v_mov_b32_e32 v254, v144
	v_add_f16_e64 v53, v223, v53
	v_fma_f16 v223, v193, 0x2de8, -v76
	v_fma_f16 v77, v242, 0x2de8, -v202
	v_add_f16_e32 v69, v71, v69
	v_mul_f16_e64 v71, 0x2de8, v135
	v_add_f16_e32 v50, v74, v50
	v_fmac_f16_e64 v76, 0x2de8, v193
	v_add_f16_e64 v53, v223, v53
	v_add_f16_e32 v64, v64, v69
	v_mul_f16_e64 v69, 0xba62, v137
	v_add_f16_e64 v71, v71, v187
	v_add_f16_e32 v67, v77, v67
	v_add_f16_e32 v50, v76, v50
	;; [unrolled: 1-line block ×3, first 2 shown]
	v_fma_f16 v64, v242, 0xb461, -v73
	v_sub_f16_e64 v69, v168, v69
	v_add_f16_e32 v47, v71, v47
	v_mul_f16_e64 v71, 0xb8d2, v140
	v_mul_f16_e64 v73, 0x3b76, v193
	v_add_f16_e32 v62, v64, v62
	v_mul_f16_e64 v64, 0x3836, v137
	s_delay_alu instid0(VALU_DEP_4) | instskip(NEXT) | instid1(VALU_DEP_4)
	v_add_f16_e64 v71, v71, v162
	v_add_f16_e32 v73, v73, v106
	s_delay_alu instid0(VALU_DEP_4) | instskip(NEXT) | instid1(VALU_DEP_4)
	v_pack_b32_f16 v51, v51, v62
	v_sub_f16_e64 v64, v163, v64
	v_lshrrev_b32_e32 v106, 16, v212
	v_add_f16_e32 v47, v71, v47
	v_mul_f16_e64 v71, 0xbbdd, v146
	s_delay_alu instid0(VALU_DEP_4) | instskip(SKIP_1) | instid1(VALU_DEP_3)
	v_add_f16_e32 v56, v64, v56
	v_mul_f16_e64 v64, 0xbacd, v135
	v_add_f16_e64 v71, v71, v241
	s_delay_alu instid0(VALU_DEP_3) | instskip(NEXT) | instid1(VALU_DEP_3)
	v_add_f16_e32 v56, v57, v56
	v_add_f16_e64 v64, v64, v157
	v_mul_f16_e64 v57, 0xbb29, v149
	s_delay_alu instid0(VALU_DEP_4) | instskip(SKIP_1) | instid1(VALU_DEP_4)
	v_add_f16_e32 v47, v71, v47
	v_mul_f16_e64 v71, 0xbacd, v155
	v_add_f16_e32 v44, v64, v44
	v_mul_f16_e64 v64, 0x39e9, v140
	v_sub_f16_e64 v57, v186, v57
	s_delay_alu instid0(VALU_DEP_4) | instskip(NEXT) | instid1(VALU_DEP_3)
	v_add_f16_e64 v71, v71, v150
	v_add_f16_e64 v64, v64, v172
	s_delay_alu instid0(VALU_DEP_3) | instskip(SKIP_1) | instid1(VALU_DEP_4)
	v_add_f16_e32 v56, v57, v56
	v_mul_f16_e64 v57, 0xb1e1, v158
	v_add_f16_e32 v47, v71, v47
	v_mul_f16_e64 v71, 0xb461, v167
	v_add_f16_e32 v44, v64, v44
	v_mul_f16_e64 v64, 0x3722, v146
	v_sub_f16_e64 v57, v198, v57
	s_delay_alu instid0(VALU_DEP_4) | instskip(NEXT) | instid1(VALU_DEP_3)
	v_add_f16_e64 v71, v71, v233
	v_add_f16_e64 v64, v64, v184
	s_delay_alu instid0(VALU_DEP_3) | instskip(SKIP_1) | instid1(VALU_DEP_4)
	v_add_f16_e32 v56, v57, v56
	v_mul_f16_e64 v57, 0x3bf7, v169
	v_add_f16_e32 v47, v71, v47
	v_mul_f16_e64 v71, 0x35c8, v197
	;; [unrolled: 2-line block ×3, first 2 shown]
	v_sub_f16_e64 v57, v203, v57
	s_delay_alu instid0(VALU_DEP_4) | instskip(NEXT) | instid1(VALU_DEP_3)
	v_sub_f16_e64 v71, v189, v71
	v_add_f16_e64 v64, v64, v190
	s_delay_alu instid0(VALU_DEP_3) | instskip(SKIP_1) | instid1(VALU_DEP_3)
	v_add_f16_e32 v56, v57, v56
	v_mul_f16_e64 v57, 0xb5c8, v182
	v_add_f16_e32 v44, v64, v44
	v_mul_f16_e64 v64, 0x2de8, v167
	s_delay_alu instid0(VALU_DEP_3) | instskip(NEXT) | instid1(VALU_DEP_2)
	v_sub_f16_e64 v57, v206, v57
	v_add_f16_e64 v64, v64, v200
	s_delay_alu instid0(VALU_DEP_2) | instskip(SKIP_1) | instid1(VALU_DEP_3)
	v_add_f16_e32 v56, v57, v56
	v_mul_f16_e64 v57, 0xba62, v197
	v_add_f16_e32 v44, v64, v44
	v_mul_f16_e64 v64, 0x3b76, v180
	s_delay_alu instid0(VALU_DEP_3) | instskip(NEXT) | instid1(VALU_DEP_2)
	v_sub_f16_e64 v57, v209, v57
	v_add_f16_e64 v64, v64, v205
	s_delay_alu instid0(VALU_DEP_2) | instskip(SKIP_1) | instid1(VALU_DEP_3)
	v_add_f16_e32 v56, v57, v56
	v_mul_f16_e64 v57, 0xb8d2, v193
	v_add_f16_e32 v44, v64, v44
	v_add_f16_e32 v64, v66, v65
	v_mul_f16_e64 v65, 0x35c8, v149
	v_mul_f16_e64 v66, 0xbbdd, v135
	v_add_f16_e32 v57, v57, v114
	s_delay_alu instid0(VALU_DEP_3) | instskip(NEXT) | instid1(VALU_DEP_3)
	v_sub_f16_e64 v65, v171, v65
	v_add_f16_e64 v66, v66, v173
	s_delay_alu instid0(VALU_DEP_3) | instskip(SKIP_1) | instid1(VALU_DEP_4)
	v_add_f16_e32 v44, v57, v44
	v_mul_f16_e64 v57, 0xbb29, v133
	v_add_f16_e32 v64, v65, v64
	v_mul_f16_e64 v65, 0xbb29, v158
	;; [unrolled: 2-line block ×3, first 2 shown]
	v_sub_f16_e64 v57, v159, v57
	v_pack_b32_f16 v44, v44, v56
	v_sub_f16_e64 v65, v183, v65
	s_delay_alu instid0(VALU_DEP_4) | instskip(NEXT) | instid1(VALU_DEP_4)
	v_add_f16_e64 v66, v66, v152
	v_add_f16_e32 v57, v112, v57
	s_delay_alu instid0(VALU_DEP_3) | instskip(SKIP_1) | instid1(VALU_DEP_4)
	v_add_f16_e32 v64, v65, v64
	v_mul_f16_e64 v65, 0xb836, v169
	v_add_f16_e32 v45, v66, v45
	v_mul_f16_e64 v66, 0x3b76, v146
	;; [unrolled: 2-line block ×3, first 2 shown]
	v_sub_f16_e64 v65, v191, v65
	s_delay_alu instid0(VALU_DEP_4) | instskip(NEXT) | instid1(VALU_DEP_3)
	v_add_f16_e64 v66, v66, v236
	v_sub_f16_e32 v69, v81, v69
	s_delay_alu instid0(VALU_DEP_3) | instskip(SKIP_1) | instid1(VALU_DEP_4)
	v_add_f16_e32 v64, v65, v64
	v_mul_f16_e64 v65, 0x3a62, v182
	v_add_f16_e32 v45, v66, v45
	v_mul_f16_e64 v66, 0x3722, v155
	;; [unrolled: 2-line block ×3, first 2 shown]
	v_sub_f16_e64 v65, v201, v65
	s_delay_alu instid0(VALU_DEP_4) | instskip(NEXT) | instid1(VALU_DEP_3)
	v_add_f16_e64 v66, v66, v177
	v_sub_f16_e64 v69, v160, v69
	s_delay_alu instid0(VALU_DEP_3) | instskip(SKIP_1) | instid1(VALU_DEP_4)
	v_add_f16_e32 v64, v65, v64
	v_mul_f16_e64 v65, 0x3964, v197
	v_add_f16_e32 v45, v66, v45
	v_mul_f16_e64 v66, 0xbacd, v167
	;; [unrolled: 2-line block ×3, first 2 shown]
	v_sub_f16_e32 v65, v110, v65
	s_delay_alu instid0(VALU_DEP_4) | instskip(NEXT) | instid1(VALU_DEP_3)
	v_add_f16_e64 v66, v66, v188
	v_sub_f16_e32 v69, v109, v69
	s_delay_alu instid0(VALU_DEP_3) | instskip(SKIP_1) | instid1(VALU_DEP_4)
	v_add_f16_e32 v64, v65, v64
	v_mul_f16_e64 v65, 0xb8d2, v180
	v_add_f16_e32 v45, v66, v45
	v_mul_f16_e64 v66, 0xb5c8, v169
	;; [unrolled: 2-line block ×3, first 2 shown]
	v_add_f16_e64 v65, v65, v199
	v_mov_b32_e32 v109, v42
	v_sub_f16_e64 v66, v185, v66
	s_delay_alu instid0(VALU_DEP_4) | instskip(NEXT) | instid1(VALU_DEP_4)
	v_add_f16_e64 v69, v69, v161
	v_add_f16_e32 v45, v65, v45
	v_mul_f16_e64 v65, 0x39e9, v193
	s_delay_alu instid0(VALU_DEP_4) | instskip(SKIP_4) | instid1(VALU_DEP_4)
	v_add_f16_e32 v57, v66, v57
	v_mul_f16_e64 v66, 0xbbf7, v182
	v_add_f16_e32 v46, v69, v46
	v_mul_f16_e64 v69, 0xbbdd, v140
	v_add_f16_e64 v65, v65, v204
	v_sub_f16_e64 v66, v195, v66
	s_delay_alu instid0(VALU_DEP_3) | instskip(NEXT) | instid1(VALU_DEP_3)
	v_add_f16_e64 v69, v69, v240
	v_add_f16_e32 v45, v65, v45
	v_mul_f16_e64 v65, 0xb964, v133
	s_delay_alu instid0(VALU_DEP_4)
	v_add_f16_e32 v57, v66, v57
	v_mul_f16_e64 v66, 0xb836, v197
	v_add_f16_e32 v46, v69, v46
	v_mul_f16_e64 v69, 0xb461, v146
	v_sub_f16_e64 v65, v215, v65
	v_pack_b32_f16 v45, v45, v64
	v_sub_f16_e64 v66, v196, v66
	s_delay_alu instid0(VALU_DEP_4) | instskip(NEXT) | instid1(VALU_DEP_4)
	v_add_f16_e64 v69, v69, v148
	v_add_f16_e32 v65, v112, v65
	s_delay_alu instid0(VALU_DEP_3) | instskip(SKIP_1) | instid1(VALU_DEP_4)
	v_add_f16_e32 v57, v66, v57
	v_add_f16_e32 v66, v124, v72
	;; [unrolled: 1-line block ×3, first 2 shown]
	s_delay_alu instid0(VALU_DEP_4) | instskip(SKIP_4) | instid1(VALU_DEP_4)
	v_add_f16_e32 v65, v70, v65
	v_mul_f16_e64 v70, 0xba62, v142
	v_mul_f16_e64 v69, 0x39e9, v155
	;; [unrolled: 1-line block ×3, first 2 shown]
	v_add_f16_e32 v66, v122, v66
	v_sub_f16_e32 v70, v25, v70
	scratch_load_b32 v25, off, off offset:12 th:TH_LOAD_LU ; 4-byte Folded Reload
	v_add_f16_e64 v69, v69, v194
	v_add_f16_e64 v72, v72, v213
	v_add_f16_e32 v66, v113, v66
	v_add_f16_e32 v65, v70, v65
	v_mul_f16_e64 v70, 0xb1e1, v149
	v_add_f16_e32 v46, v69, v46
	v_mul_f16_e64 v69, 0x3b76, v167
	v_add_f16_e32 v66, v121, v66
	s_delay_alu instid0(VALU_DEP_4) | instskip(NEXT) | instid1(VALU_DEP_3)
	v_sub_f16_e64 v70, v141, v70
	v_add_f16_e64 v69, v69, v170
	s_delay_alu instid0(VALU_DEP_3) | instskip(NEXT) | instid1(VALU_DEP_3)
	v_add_f16_e32 v66, v120, v66
	v_add_f16_e32 v65, v70, v65
	v_mul_f16_e64 v70, 0x3836, v158
	s_delay_alu instid0(VALU_DEP_4) | instskip(SKIP_2) | instid1(VALU_DEP_4)
	v_add_f16_e32 v46, v69, v46
	v_mul_f16_e64 v69, 0x2de8, v180
	v_add_f16_e32 v66, v119, v66
	v_sub_f16_e64 v70, v153, v70
	s_delay_alu instid0(VALU_DEP_3) | instskip(NEXT) | instid1(VALU_DEP_3)
	v_add_f16_e64 v69, v69, v222
	v_add_f16_e32 v66, v118, v66
	s_delay_alu instid0(VALU_DEP_3) | instskip(SKIP_1) | instid1(VALU_DEP_4)
	v_add_f16_e32 v65, v70, v65
	v_mul_f16_e64 v70, 0x3bb2, v169
	v_add_f16_e32 v46, v69, v46
	v_mul_f16_e64 v69, 0xbacd, v193
	v_add_f16_e64 v66, v132, v66
	s_delay_alu instid0(VALU_DEP_4) | instskip(NEXT) | instid1(VALU_DEP_3)
	v_sub_f16_e64 v70, v166, v70
	v_add_f16_e64 v69, v69, v235
	s_delay_alu instid0(VALU_DEP_3) | instskip(NEXT) | instid1(VALU_DEP_3)
	v_add_f16_e64 v66, v131, v66
	v_add_f16_e32 v65, v70, v65
	v_mul_f16_e64 v70, 0x3b29, v182
	s_delay_alu instid0(VALU_DEP_4) | instskip(SKIP_2) | instid1(VALU_DEP_4)
	v_add_f16_e32 v46, v69, v46
	v_mul_f16_e64 v69, 0x3722, v180
	v_add_f16_e64 v66, v130, v66
	v_sub_f16_e64 v70, v181, v70
	s_delay_alu instid0(VALU_DEP_4) | instskip(NEXT) | instid1(VALU_DEP_4)
	v_pack_b32_f16 v46, v46, v57
	v_add_f16_e64 v69, v69, v179
	s_delay_alu instid0(VALU_DEP_4) | instskip(NEXT) | instid1(VALU_DEP_4)
	v_add_f16_e64 v66, v129, v66
	v_add_f16_e32 v65, v70, v65
	v_mul_f16_e64 v70, 0xb5c8, v133
	s_delay_alu instid0(VALU_DEP_4) | instskip(NEXT) | instid1(VALU_DEP_4)
	v_add_f16_e32 v47, v69, v47
	v_add_f16_e32 v66, v127, v66
	s_delay_alu instid0(VALU_DEP_4) | instskip(NEXT) | instid1(VALU_DEP_4)
	v_add_f16_e32 v65, v71, v65
	v_sub_f16_e64 v70, v147, v70
	s_delay_alu instid0(VALU_DEP_4) | instskip(NEXT) | instid1(VALU_DEP_4)
	v_add_f16_e32 v47, v73, v47
	v_add_f16_e64 v66, v128, v66
	s_delay_alu instid0(VALU_DEP_3) | instskip(SKIP_1) | instid1(VALU_DEP_3)
	v_add_f16_e32 v69, v112, v70
	v_mul_f16_e64 v70, 0xb964, v137
	v_add_f16_e32 v66, v123, v66
	v_pack_b32_f16 v47, v47, v65
	s_delay_alu instid0(VALU_DEP_3) | instskip(NEXT) | instid1(VALU_DEP_1)
	v_sub_f16_e64 v70, v214, v70
	v_add_f16_e32 v69, v70, v69
	v_mul_f16_e64 v70, 0xbb29, v142
	s_delay_alu instid0(VALU_DEP_1) | instskip(NEXT) | instid1(VALU_DEP_1)
	v_sub_f16_e64 v70, v221, v70
	v_add_f16_e32 v69, v70, v69
	v_mul_f16_e64 v70, 0xbbf7, v149
	s_delay_alu instid0(VALU_DEP_1) | instskip(NEXT) | instid1(VALU_DEP_1)
	v_sub_f16_e32 v70, v107, v70
	v_add_f16_e32 v69, v70, v69
	v_mul_f16_e64 v70, 0xbbb2, v158
	s_delay_alu instid0(VALU_DEP_1) | instskip(NEXT) | instid1(VALU_DEP_1)
	v_sub_f16_e64 v70, v210, v70
	v_add_f16_e32 v69, v70, v69
	v_mul_f16_e64 v70, 0xba62, v169
	s_delay_alu instid0(VALU_DEP_1) | instskip(SKIP_1) | instid1(VALU_DEP_2)
	v_sub_f16_e32 v70, v49, v70
	v_perm_b32 v49, v115, v38, 0x5040100
	v_add_f16_e32 v69, v70, v69
	v_mul_f16_e64 v70, 0xb836, v182
	s_delay_alu instid0(VALU_DEP_1) | instskip(NEXT) | instid1(VALU_DEP_1)
	v_sub_f16_e64 v70, v231, v70
	v_add_f16_e32 v69, v70, v69
	v_mul_f16_e64 v70, 0xb1e1, v197
	s_delay_alu instid0(VALU_DEP_1) | instskip(SKIP_1) | instid1(VALU_DEP_2)
	v_sub_f16_e32 v70, v102, v70
	v_lshrrev_b32_e32 v102, 16, v19
	v_add_f16_e32 v69, v70, v69
	v_and_b32_e32 v70, 0xffff, v84
	v_dual_mov_b32 v84, v87 :: v_dual_mov_b32 v87, v91
	scratch_load_b32 v91, off, off          ; 4-byte Folded Reload
	v_dual_mov_b32 v107, v108 :: v_dual_lshlrev_b32 v70, 2, v70
	s_wait_loadcnt 0x1
	v_add_f16_e32 v42, v72, v25
	v_mul_f16_e64 v72, 0x3722, v140
	v_lshrrev_b32_e32 v25, 16, v3
	s_delay_alu instid0(VALU_DEP_2) | instskip(NEXT) | instid1(VALU_DEP_1)
	v_add_f16_e64 v72, v72, v217
	v_add_f16_e32 v42, v72, v42
	v_mul_f16_e64 v72, 0x2de8, v146
	s_delay_alu instid0(VALU_DEP_1) | instskip(NEXT) | instid1(VALU_DEP_1)
	v_add_f16_e64 v72, v72, v225
	v_add_f16_e32 v42, v72, v42
	v_mul_f16_e64 v72, 0xb461, v155
	s_delay_alu instid0(VALU_DEP_1) | instskip(NEXT) | instid1(VALU_DEP_1)
	v_add_f16_e64 v72, v72, v237
	v_add_f16_e32 v42, v72, v42
	v_mul_f16_e64 v72, 0xb8d2, v167
	s_delay_alu instid0(VALU_DEP_1) | instskip(SKIP_1) | instid1(VALU_DEP_2)
	v_add_f16_e32 v72, v72, v98
	v_lshrrev_b32_e32 v98, 16, v17
	v_add_f16_e32 v42, v72, v42
	v_mul_f16_e64 v72, 0xbacd, v180
	s_delay_alu instid0(VALU_DEP_1) | instskip(NEXT) | instid1(VALU_DEP_1)
	v_add_f16_e64 v72, v72, v229
	v_add_f16_e32 v42, v72, v42
	v_mul_f16_e64 v72, 0xbbdd, v193
	s_delay_alu instid0(VALU_DEP_1) | instskip(SKIP_2) | instid1(VALU_DEP_1)
	v_add_f16_e32 v72, v72, v43
	scratch_load_b32 v43, off, off offset:4 th:TH_LOAD_LU ; 4-byte Folded Reload
	v_add_f16_e32 v42, v72, v42
	v_pack_b32_f16 v42, v42, v69
	s_wait_loadcnt 0x0
	v_add_f16_e32 v43, v117, v43
	s_delay_alu instid0(VALU_DEP_1)
	v_pack_b32_f16 v43, v43, v66
	ds_store_2addr_b32 v70, v43, v42 offset1:1
	ds_store_2addr_b32 v70, v47, v46 offset0:2 offset1:3
	ds_store_2addr_b32 v70, v45, v44 offset0:4 offset1:5
	;; [unrolled: 1-line block ×3, first 2 shown]
	scratch_load_b32 v44, off, off offset:8 th:TH_LOAD_LU ; 4-byte Folded Reload
	v_pack_b32_f16 v42, v53, v68
	v_pack_b32_f16 v43, v50, v67
	v_pack_b32_f16 v45, v54, v58
	v_perm_b32 v46, v111, v41, 0x5040100
	v_perm_b32 v47, v116, v40, 0x5040100
	;; [unrolled: 1-line block ×4, first 2 shown]
	s_wait_loadcnt 0x0
	v_pack_b32_f16 v44, v55, v44
	ds_store_2addr_b32 v70, v43, v42 offset0:8 offset1:9
	ds_store_2addr_b32 v70, v45, v44 offset0:10 offset1:11
	;; [unrolled: 1-line block ×4, first 2 shown]
	ds_store_b32 v70, v50 offset:64
.LBB0_17:
	s_wait_alu 0xfffe
	s_or_b32 exec_lo, exec_lo, s1
	v_add_nc_u32_e32 v42, 0x400, v61
	v_add_nc_u32_e32 v43, 0xf00, v61
	;; [unrolled: 1-line block ×4, first 2 shown]
	global_wb scope:SCOPE_SE
	s_wait_storecnt_dscnt 0x0
	s_barrier_signal -1
	s_barrier_wait -1
	global_inv scope:SCOPE_SE
	ds_load_2addr_b32 v[46:47], v42 offset0:84 offset1:254
	v_add_nc_u32_e32 v58, 0x1a00, v61
	ds_load_2addr_b32 v[44:45], v61 offset1:170
	ds_load_2addr_b32 v[48:49], v43 offset0:60 offset1:230
	ds_load_2addr_b32 v[50:51], v56 offset0:80 offset1:250
	;; [unrolled: 1-line block ×4, first 2 shown]
	global_wb scope:SCOPE_SE
	s_wait_dscnt 0x0
	s_barrier_signal -1
	s_barrier_wait -1
	global_inv scope:SCOPE_SE
	v_lshrrev_b32_e32 v66, 16, v48
	v_lshrrev_b32_e32 v65, 16, v47
	;; [unrolled: 1-line block ×6, first 2 shown]
	v_mul_f16_e32 v75, v103, v47
	v_mul_f16_e32 v76, v104, v48
	;; [unrolled: 1-line block ×6, first 2 shown]
	v_lshrrev_b32_e32 v72, 16, v53
	v_lshrrev_b32_e32 v73, 16, v50
	v_fma_f16 v65, v22, v65, -v75
	v_fmac_f16_e32 v77, v22, v47
	v_fmac_f16_e32 v78, v23, v48
	v_fma_f16 v22, v23, v66, -v76
	v_fmac_f16_e32 v80, v24, v51
	v_fma_f16 v23, v24, v67, -v79
	v_mul_f16_e32 v24, v102, v68
	v_mul_f16_e32 v47, v102, v52
	;; [unrolled: 1-line block ×5, first 2 shown]
	v_lshrrev_b32_e32 v74, 16, v55
	v_fmac_f16_e32 v24, v19, v52
	v_fma_f16 v19, v19, v68, -v47
	v_fmac_f16_e32 v48, v20, v49
	v_fma_f16 v20, v20, v69, -v51
	v_fmac_f16_e32 v66, v21, v54
	v_mul_f16_e32 v47, v100, v54
	v_mul_f16_e32 v49, v99, v72
	;; [unrolled: 1-line block ×5, first 2 shown]
	v_lshrrev_b32_e32 v62, 16, v44
	v_fmac_f16_e32 v49, v16, v53
	v_fma_f16 v16, v16, v72, -v51
	v_fmac_f16_e32 v52, v17, v50
	v_fma_f16 v17, v17, v73, -v54
	v_mul_f16_e32 v51, v97, v74
	v_mul_f16_e32 v54, v97, v55
	v_fma_f16 v21, v21, v70, -v47
	v_sub_f16_e32 v47, v44, v78
	v_sub_f16_e32 v50, v77, v80
	;; [unrolled: 1-line block ×4, first 2 shown]
	v_lshrrev_b32_e32 v64, 16, v45
	v_lshrrev_b32_e32 v71, 16, v46
	v_fmac_f16_e32 v51, v18, v55
	v_fma_f16 v18, v18, v74, -v54
	v_fma_f16 v44, v44, 2.0, -v47
	v_fma_f16 v53, v77, 2.0, -v50
	;; [unrolled: 1-line block ×4, first 2 shown]
	v_sub_f16_e32 v48, v45, v48
	v_sub_f16_e32 v55, v24, v66
	;; [unrolled: 1-line block ×10, first 2 shown]
	v_add_f16_e32 v23, v47, v23
	v_sub_f16_e32 v50, v22, v50
	v_fma_f16 v45, v45, 2.0, -v48
	v_fma_f16 v24, v24, 2.0, -v55
	;; [unrolled: 1-line block ×12, first 2 shown]
	v_sub_f16_e32 v24, v45, v24
	v_sub_f16_e32 v19, v64, v19
	v_add_f16_e32 v21, v48, v21
	v_sub_f16_e32 v55, v20, v55
	v_sub_f16_e32 v49, v46, v49
	;; [unrolled: 1-line block ×3, first 2 shown]
	v_add_f16_e32 v18, v52, v18
	v_sub_f16_e32 v51, v17, v51
	v_pack_b32_f16 v44, v44, v62
	v_pack_b32_f16 v22, v47, v22
	v_fma_f16 v45, v45, 2.0, -v24
	v_fma_f16 v64, v64, 2.0, -v19
	;; [unrolled: 1-line block ×8, first 2 shown]
	ds_store_2addr_b32 v92, v44, v22 offset1:17
	v_pack_b32_f16 v22, v53, v54
	v_pack_b32_f16 v23, v23, v50
	;; [unrolled: 1-line block ×10, first 2 shown]
	ds_store_2addr_b32 v92, v22, v23 offset0:34 offset1:51
	ds_store_2addr_b32 v94, v44, v20 offset1:17
	ds_store_2addr_b32 v94, v19, v21 offset0:34 offset1:51
	ds_store_2addr_b32 v93, v24, v17 offset1:17
	ds_store_2addr_b32 v93, v16, v18 offset0:34 offset1:51
	global_wb scope:SCOPE_SE
	s_wait_dscnt 0x0
	s_barrier_signal -1
	s_barrier_wait -1
	global_inv scope:SCOPE_SE
	ds_load_2addr_b32 v[18:19], v61 offset1:170
	ds_load_2addr_b32 v[20:21], v57 offset0:40 offset1:210
	ds_load_2addr_b32 v[22:23], v56 offset0:80 offset1:250
	;; [unrolled: 1-line block ×5, first 2 shown]
	v_lshrrev_b32_e32 v58, 16, v32
	v_lshrrev_b32_e32 v65, 16, v33
	global_wb scope:SCOPE_SE
	s_wait_dscnt 0x0
	s_barrier_signal -1
	s_barrier_wait -1
	global_inv scope:SCOPE_SE
	v_lshrrev_b32_e32 v42, 16, v18
	v_lshrrev_b32_e32 v48, 16, v20
	;; [unrolled: 1-line block ×6, first 2 shown]
	v_mul_f16_e32 v56, v58, v48
	v_mul_f16_e32 v58, v58, v20
	;; [unrolled: 1-line block ×3, first 2 shown]
	v_lshrrev_b32_e32 v55, 16, v46
	v_lshrrev_b32_e32 v57, 16, v45
	v_fmac_f16_e32 v56, v32, v20
	v_mul_f16_e32 v20, v65, v22
	v_fma_f16 v32, v32, v48, -v58
	v_lshrrev_b32_e32 v58, 16, v30
	v_fmac_f16_e32 v64, v33, v22
	v_lshrrev_b32_e32 v62, 16, v47
	v_fma_f16 v20, v33, v49, -v20
	v_lshrrev_b32_e32 v49, 16, v31
	v_mul_f16_e32 v48, v58, v51
	v_mul_f16_e32 v22, v58, v21
	v_lshrrev_b32_e32 v50, 16, v19
	v_lshrrev_b32_e32 v53, 16, v16
	v_mul_f16_e32 v33, v49, v52
	v_fmac_f16_e32 v48, v30, v21
	v_mul_f16_e32 v21, v49, v23
	v_fma_f16 v22, v30, v51, -v22
	v_mul_f16_e64 v30, v255, v54
	v_fmac_f16_e32 v33, v31, v23
	v_mul_f16_e64 v23, v255, v44
	v_fma_f16 v21, v31, v52, -v21
	v_mul_f16_e64 v31, v254, v55
	v_fmac_f16_e32 v30, v28, v44
	v_mul_f16_e64 v44, v254, v46
	;; [unrolled: 4-line block ×3, first 2 shown]
	v_fma_f16 v29, v29, v55, -v44
	v_mul_f16_e32 v44, v105, v62
	v_fmac_f16_e32 v28, v26, v45
	v_mul_f16_e32 v45, v105, v47
	v_fma_f16 v26, v26, v57, -v46
	v_add_f16_e32 v46, v56, v64
	v_fmac_f16_e32 v44, v27, v47
	v_add_f16_e32 v47, v18, v56
	v_fma_f16 v27, v27, v62, -v45
	v_add_f16_e32 v45, v32, v20
	v_fma_f16 v18, -0.5, v46, v18
	v_sub_f16_e32 v46, v32, v20
	v_add_f16_e32 v32, v42, v32
	v_add_f16_e32 v51, v19, v48
	v_fmac_f16_e32 v42, -0.5, v45
	v_sub_f16_e32 v45, v56, v64
	v_fmamk_f16 v49, v46, 0xbaee, v18
	v_fmac_f16_e32 v18, 0x3aee, v46
	v_add_f16_e32 v20, v32, v20
	v_add_f16_e32 v32, v48, v33
	v_fmamk_f16 v46, v45, 0x3aee, v42
	v_fmac_f16_e32 v42, 0xbaee, v45
	v_add_f16_e32 v45, v22, v21
	v_add_f16_e32 v51, v51, v33
	v_fmac_f16_e32 v19, -0.5, v32
	v_sub_f16_e32 v32, v22, v21
	v_add_f16_e32 v22, v50, v22
	v_fmac_f16_e32 v50, -0.5, v45
	v_sub_f16_e32 v33, v48, v33
	v_add_f16_e32 v48, v16, v30
	v_fmamk_f16 v45, v32, 0xbaee, v19
	v_fmac_f16_e32 v19, 0x3aee, v32
	v_add_f16_e32 v21, v22, v21
	v_add_f16_e32 v22, v30, v31
	v_fmamk_f16 v32, v33, 0x3aee, v50
	v_fmac_f16_e32 v50, 0xbaee, v33
	v_add_f16_e32 v33, v23, v29
	v_sub_f16_e32 v30, v30, v31
	v_fma_f16 v22, -0.5, v22, v16
	v_sub_f16_e32 v16, v23, v29
	v_add_f16_e32 v23, v53, v23
	v_fmac_f16_e32 v53, -0.5, v33
	v_lshrrev_b32_e32 v24, 16, v17
	v_add_f16_e32 v48, v48, v31
	v_fmamk_f16 v31, v16, 0xbaee, v22
	v_add_f16_e32 v23, v23, v29
	v_fmamk_f16 v29, v30, 0x3aee, v53
	v_fmac_f16_e32 v53, 0xbaee, v30
	v_add_f16_e32 v30, v26, v27
	v_fmac_f16_e32 v22, 0x3aee, v16
	v_add_f16_e32 v16, v28, v44
	v_add_f16_e32 v47, v47, v64
	v_sub_f16_e32 v52, v26, v27
	v_add_f16_e32 v26, v24, v26
	v_add_f16_e32 v33, v17, v28
	v_fmac_f16_e32 v24, -0.5, v30
	v_sub_f16_e32 v28, v28, v44
	v_fmac_f16_e32 v17, -0.5, v16
	v_add_f16_e32 v26, v26, v27
	v_pack_b32_f16 v20, v47, v20
	v_pack_b32_f16 v27, v49, v46
	v_pack_b32_f16 v18, v18, v42
	v_fmamk_f16 v30, v28, 0x3aee, v24
	v_fmac_f16_e32 v24, 0xbaee, v28
	v_pack_b32_f16 v21, v51, v21
	v_pack_b32_f16 v28, v45, v32
	v_add_f16_e32 v33, v33, v44
	v_fmamk_f16 v16, v52, 0xbaee, v17
	v_fmac_f16_e32 v17, 0x3aee, v52
	ds_store_2addr_b32 v96, v20, v27 offset1:68
	ds_store_b32 v96, v18 offset:544
	ds_store_2addr_b32 v95, v21, v28 offset1:68
	v_pack_b32_f16 v18, v19, v50
	v_pack_b32_f16 v19, v48, v23
	;; [unrolled: 1-line block ×3, first 2 shown]
	v_add_nc_u32_e32 v31, 0x600, v61
	v_pack_b32_f16 v21, v22, v53
	v_add_nc_u32_e32 v32, 0xc00, v61
	v_pack_b32_f16 v22, v33, v26
	v_pack_b32_f16 v23, v16, v30
	v_add_nc_u32_e32 v33, 0x1300, v61
	v_pack_b32_f16 v26, v17, v24
	v_add_nc_u32_e32 v42, 0x1900, v61
	ds_store_b32 v95, v18 offset:544
	ds_store_2addr_b32 v91, v19, v20 offset1:68
	ds_store_b32 v91, v21 offset:544
	ds_store_2addr_b32 v90, v22, v23 offset1:68
	ds_store_b32 v90, v26 offset:544
	global_wb scope:SCOPE_SE
	s_wait_dscnt 0x0
	s_barrier_signal -1
	s_barrier_wait -1
	global_inv scope:SCOPE_SE
	ds_load_2addr_b32 v[18:19], v61 offset1:204
	ds_load_2addr_b32 v[28:29], v31 offset0:24 offset1:228
	ds_load_2addr_b32 v[26:27], v32 offset0:48 offset1:252
	;; [unrolled: 1-line block ×4, first 2 shown]
	s_and_saveexec_b32 s1, s0
	s_cbranch_execz .LBB0_19
; %bb.18:
	v_add_nc_u32_e32 v16, 0x200, v61
	v_add_nc_u32_e32 v24, 0x900, v61
	;; [unrolled: 1-line block ×4, first 2 shown]
	ds_load_2addr_b32 v[38:39], v43 offset0:26 offset1:230
	ds_load_2addr_b32 v[16:17], v16 offset0:42 offset1:246
	;; [unrolled: 1-line block ×5, first 2 shown]
	s_wait_dscnt 0x4
	v_lshrrev_b32_e32 v115, 16, v38
	v_lshrrev_b32_e32 v208, 16, v39
	s_wait_dscnt 0x3
	v_lshrrev_b32_e32 v30, 16, v16
	v_lshrrev_b32_e32 v24, 16, v17
	s_wait_dscnt 0x2
	v_lshrrev_b32_e32 v116, 16, v40
	v_lshrrev_b32_e32 v111, 16, v41
	s_wait_dscnt 0x1
	v_lshrrev_b32_e32 v174, 16, v36
	v_lshrrev_b32_e32 v227, 16, v37
	s_wait_dscnt 0x0
	v_lshrrev_b32_e32 v109, 16, v34
	v_lshrrev_b32_e32 v107, 16, v35
.LBB0_19:
	s_wait_alu 0xfffe
	s_or_b32 exec_lo, exec_lo, s1
	s_wait_dscnt 0x4
	v_lshrrev_b32_e32 v44, 16, v19
	v_lshrrev_b32_e32 v53, 16, v12
	s_wait_dscnt 0x3
	v_lshrrev_b32_e32 v45, 16, v28
	v_lshrrev_b32_e32 v56, 16, v13
	;; [unrolled: 1-line block ×3, first 2 shown]
	s_wait_dscnt 0x2
	v_lshrrev_b32_e32 v47, 16, v26
	v_mul_f16_e32 v51, v53, v44
	v_mul_f16_e32 v53, v53, v19
	;; [unrolled: 1-line block ×3, first 2 shown]
	v_lshrrev_b32_e32 v48, 16, v27
	s_wait_dscnt 0x1
	v_lshrrev_b32_e32 v49, 16, v22
	v_fmac_f16_e32 v51, v12, v19
	v_mul_f16_e32 v19, v56, v28
	v_fma_f16 v12, v12, v44, -v53
	v_lshrrev_b32_e32 v44, 16, v14
	v_fmac_f16_e32 v54, v13, v28
	v_lshrrev_b32_e32 v50, 16, v23
	v_fma_f16 v13, v13, v45, -v19
	v_lshrrev_b32_e32 v45, 16, v15
	v_mul_f16_e32 v28, v44, v46
	v_mul_f16_e32 v44, v44, v29
	s_wait_dscnt 0x0
	v_lshrrev_b32_e32 v52, 16, v20
	v_lshrrev_b32_e32 v55, 16, v21
	v_mul_f16_e32 v19, v45, v47
	v_mul_f16_e32 v45, v45, v26
	v_fmac_f16_e32 v28, v14, v29
	v_fma_f16 v14, v14, v46, -v44
	v_lshrrev_b32_e32 v44, 16, v8
	v_fmac_f16_e32 v19, v15, v26
	v_fma_f16 v15, v15, v47, -v45
	v_lshrrev_b32_e32 v45, 16, v9
	v_lshrrev_b32_e32 v47, 16, v10
	v_mul_f16_e32 v29, v44, v48
	v_mul_f16_e32 v26, v44, v27
	v_lshrrev_b32_e32 v46, 16, v11
	v_mul_f16_e32 v44, v45, v49
	v_lshrrev_b32_e32 v43, 16, v18
	v_fmac_f16_e32 v29, v8, v27
	v_mul_f16_e32 v27, v45, v22
	v_mul_f16_e32 v45, v47, v50
	v_fmac_f16_e32 v44, v9, v22
	v_mul_f16_e32 v22, v46, v20
	v_fma_f16 v8, v8, v48, -v26
	v_fma_f16 v9, v9, v49, -v27
	v_mul_f16_e32 v27, v46, v52
	v_fmac_f16_e32 v45, v10, v23
	v_mul_f16_e32 v23, v47, v23
	v_add_f16_e32 v26, v19, v44
	v_fma_f16 v22, v11, v52, -v22
	v_fmac_f16_e32 v27, v11, v20
	v_add_f16_e32 v47, v18, v54
	v_fma_f16 v10, v10, v50, -v23
	v_mul_f16_e32 v46, v106, v55
	v_fma_f16 v26, -0.5, v26, v18
	v_add_f16_e32 v50, v54, v27
	v_sub_f16_e32 v48, v13, v22
	v_add_f16_e32 v11, v47, v19
	v_sub_f16_e32 v23, v15, v9
	v_sub_f16_e32 v47, v54, v19
	;; [unrolled: 1-line block ×3, first 2 shown]
	v_fmac_f16_e32 v18, -0.5, v50
	v_fmac_f16_e64 v46, v212, v21
	v_fmamk_f16 v20, v48, 0xbb9c, v26
	v_mul_f16_e32 v21, v106, v21
	v_add_f16_e32 v47, v47, v49
	v_fmac_f16_e32 v26, 0x3b9c, v48
	v_fmamk_f16 v49, v23, 0x3b9c, v18
	v_add_f16_e32 v53, v43, v13
	v_fmac_f16_e32 v18, 0xbb9c, v23
	v_add_f16_e32 v11, v11, v44
	v_fmac_f16_e32 v20, 0xb8b4, v23
	v_fma_f16 v21, v212, v55, -v21
	v_sub_f16_e32 v50, v19, v54
	v_sub_f16_e32 v52, v44, v27
	v_fmac_f16_e32 v26, 0x38b4, v23
	v_add_f16_e32 v55, v15, v9
	v_fmac_f16_e32 v49, 0xb8b4, v48
	v_add_f16_e32 v23, v53, v15
	;; [unrolled: 2-line block ×3, first 2 shown]
	v_add_f16_e32 v11, v11, v27
	v_add_f16_e32 v50, v50, v52
	v_fma_f16 v52, -0.5, v55, v43
	v_sub_f16_e32 v27, v54, v27
	v_add_f16_e32 v23, v23, v9
	v_sub_f16_e32 v19, v19, v44
	v_sub_f16_e32 v44, v13, v15
	v_sub_f16_e32 v53, v22, v9
	v_fmac_f16_e32 v43, -0.5, v48
	v_sub_f16_e32 v13, v15, v13
	v_sub_f16_e32 v9, v9, v22
	v_add_f16_e32 v15, v51, v28
	v_fmac_f16_e32 v20, 0x34f2, v47
	v_fmac_f16_e32 v26, 0x34f2, v47
	v_fmamk_f16 v47, v27, 0x3b9c, v52
	v_fmac_f16_e32 v52, 0xbb9c, v27
	v_fmamk_f16 v48, v19, 0xbb9c, v43
	v_add_f16_e32 v9, v13, v9
	v_fmac_f16_e32 v43, 0x3b9c, v19
	v_add_f16_e32 v13, v15, v29
	v_add_f16_e32 v15, v29, v45
	v_fmac_f16_e32 v47, 0x38b4, v19
	v_fmac_f16_e32 v52, 0xb8b4, v19
	;; [unrolled: 1-line block ×4, first 2 shown]
	v_add_f16_e32 v13, v13, v45
	v_add_f16_e32 v19, v28, v46
	;; [unrolled: 1-line block ×4, first 2 shown]
	v_fma_f16 v15, -0.5, v15, v51
	v_sub_f16_e32 v22, v14, v21
	v_fmac_f16_e32 v48, 0x34f2, v9
	v_fmac_f16_e32 v43, 0x34f2, v9
	v_add_f16_e32 v9, v13, v46
	v_sub_f16_e32 v13, v8, v10
	v_fmac_f16_e32 v51, -0.5, v19
	v_fmac_f16_e32 v47, 0x34f2, v44
	v_fmac_f16_e32 v52, 0x34f2, v44
	v_fmamk_f16 v19, v22, 0xbb9c, v15
	v_sub_f16_e32 v27, v28, v29
	v_sub_f16_e32 v44, v46, v45
	v_fmac_f16_e32 v15, 0x3b9c, v22
	v_fmac_f16_e32 v49, 0x34f2, v50
	;; [unrolled: 1-line block ×3, first 2 shown]
	v_fmamk_f16 v50, v13, 0x3b9c, v51
	v_fmac_f16_e32 v51, 0xbb9c, v13
	v_sub_f16_e32 v53, v29, v28
	v_sub_f16_e32 v54, v45, v46
	v_fmac_f16_e32 v19, 0xb8b4, v13
	v_add_f16_e32 v27, v27, v44
	v_fmac_f16_e32 v15, 0x38b4, v13
	v_add_f16_e32 v13, v8, v10
	v_fmac_f16_e32 v50, 0xb8b4, v22
	v_fmac_f16_e32 v51, 0x38b4, v22
	v_add_f16_e32 v22, v14, v21
	v_add_f16_e32 v44, v53, v54
	v_fmac_f16_e32 v19, 0x34f2, v27
	v_fmac_f16_e32 v15, 0x34f2, v27
	v_fma_f16 v13, -0.5, v13, v12
	v_sub_f16_e32 v27, v28, v46
	v_add_f16_e32 v28, v12, v14
	v_sub_f16_e32 v29, v29, v45
	v_fmac_f16_e32 v12, -0.5, v22
	v_fmac_f16_e32 v50, 0x34f2, v44
	v_fmac_f16_e32 v51, 0x34f2, v44
	v_fmamk_f16 v22, v27, 0x3b9c, v13
	v_sub_f16_e32 v44, v14, v8
	v_sub_f16_e32 v45, v21, v10
	v_fmamk_f16 v46, v29, 0xbb9c, v12
	v_sub_f16_e32 v14, v8, v14
	v_sub_f16_e32 v53, v10, v21
	v_fmac_f16_e32 v12, 0x3b9c, v29
	v_fmac_f16_e32 v13, 0xbb9c, v27
	;; [unrolled: 1-line block ×3, first 2 shown]
	v_add_f16_e32 v44, v44, v45
	v_fmac_f16_e32 v46, 0x38b4, v27
	v_add_f16_e32 v14, v14, v53
	v_fmac_f16_e32 v12, 0xb8b4, v27
	;; [unrolled: 2-line block ×3, first 2 shown]
	v_fmac_f16_e32 v22, 0x34f2, v44
	v_fmac_f16_e32 v46, 0x34f2, v14
	v_fmac_f16_e32 v12, 0x34f2, v14
	v_add_f16_e32 v8, v8, v10
	v_fmac_f16_e32 v13, 0x34f2, v44
	v_mul_f16_e32 v10, 0xb8b4, v22
	v_mul_f16_e32 v22, 0x3a79, v22
	;; [unrolled: 1-line block ×6, first 2 shown]
	v_add_f16_e32 v8, v8, v21
	v_mul_f16_e32 v21, 0xb8b4, v13
	v_mul_f16_e32 v13, 0xba79, v13
	v_fmac_f16_e32 v10, 0x3a79, v19
	v_fmac_f16_e32 v22, 0x38b4, v19
	;; [unrolled: 1-line block ×8, first 2 shown]
	v_add_f16_e32 v28, v11, v9
	v_add_f16_e32 v29, v20, v10
	;; [unrolled: 1-line block ×10, first 2 shown]
	v_sub_f16_e32 v9, v11, v9
	v_sub_f16_e32 v8, v23, v8
	;; [unrolled: 1-line block ×10, first 2 shown]
	v_pack_b32_f16 v15, v28, v15
	v_pack_b32_f16 v19, v29, v19
	;; [unrolled: 1-line block ×10, first 2 shown]
	ds_store_2addr_b32 v61, v15, v19 offset1:204
	ds_store_2addr_b32 v31, v22, v23 offset0:24 offset1:228
	ds_store_2addr_b32 v32, v26, v8 offset0:48 offset1:252
	;; [unrolled: 1-line block ×4, first 2 shown]
	s_and_saveexec_b32 s1, s0
	s_cbranch_execz .LBB0_21
; %bb.20:
	v_mul_f16_e32 v8, v25, v38
	v_mul_f16_e32 v15, v25, v115
	;; [unrolled: 1-line block ×3, first 2 shown]
	v_mul_f16_e64 v18, v87, v174
	v_mul_f16_e32 v20, v82, v111
	v_fma_f16 v8, v3, v115, -v8
	v_fmac_f16_e32 v15, v3, v38
	v_mul_f16_e32 v3, v84, v107
	v_fma_f16 v9, v5, v174, -v9
	v_mul_f16_e64 v21, v86, v208
	v_fmac_f16_e32 v18, v5, v36
	v_fmac_f16_e32 v20, v2, v41
	v_mul_f16_e64 v5, v85, v227
	v_mul_f16_e32 v22, v86, v39
	v_fmac_f16_e32 v3, v63, v35
	v_mul_f16_e32 v23, v85, v37
	v_mul_f16_e32 v26, v83, v24
	v_fmac_f16_e32 v21, v4, v39
	v_fmac_f16_e32 v5, v6, v37
	v_fma_f16 v4, v4, v208, -v22
	v_mul_f16_e32 v22, v83, v17
	v_fma_f16 v6, v6, v227, -v23
	v_fmac_f16_e32 v26, v0, v17
	v_mul_f16_e32 v17, v82, v41
	v_mul_f16_e32 v23, v84, v35
	v_add_f16_e32 v41, v20, v3
	v_mul_f16_e32 v10, v88, v40
	v_mul_f16_e32 v12, v88, v116
	;; [unrolled: 1-line block ×3, first 2 shown]
	v_fma_f16 v0, v0, v24, -v22
	v_add_f16_e32 v24, v21, v5
	v_fma_f16 v2, v2, v111, -v17
	v_fma_f16 v17, v63, v107, -v23
	v_sub_f16_e32 v36, v4, v6
	v_fma_f16 v41, -0.5, v41, v26
	v_mul_f16_e32 v11, v89, v34
	v_fma_f16 v10, v1, v116, -v10
	v_add_f16_e32 v14, v8, v9
	v_fmac_f16_e32 v12, v1, v40
	v_fmac_f16_e32 v13, v7, v34
	v_add_f16_e32 v22, v4, v6
	v_fma_f16 v24, -0.5, v24, v26
	v_sub_f16_e32 v28, v2, v17
	v_add_f16_e32 v40, v2, v17
	v_fmamk_f16 v48, v36, 0xbb9c, v41
	v_fmac_f16_e32 v41, 0x3b9c, v36
	v_fma_f16 v11, v7, v109, -v11
	v_fma_f16 v14, -0.5, v14, v30
	v_sub_f16_e32 v19, v12, v13
	v_fma_f16 v22, -0.5, v22, v0
	v_sub_f16_e32 v29, v2, v4
	v_sub_f16_e32 v31, v17, v6
	v_fmamk_f16 v35, v28, 0x3b9c, v24
	v_fma_f16 v40, -0.5, v40, v0
	v_fmac_f16_e32 v48, 0x38b4, v28
	v_fmac_f16_e32 v41, 0xb8b4, v28
	;; [unrolled: 1-line block ×3, first 2 shown]
	v_add_f16_e32 v28, v10, v30
	v_add_f16_e32 v0, v2, v0
	v_sub_f16_e32 v1, v10, v8
	v_sub_f16_e32 v7, v11, v9
	v_sub_f16_e32 v27, v20, v3
	v_add_f16_e32 v29, v29, v31
	v_fmamk_f16 v31, v19, 0xbb9c, v14
	v_sub_f16_e32 v37, v15, v18
	v_sub_f16_e32 v45, v4, v2
	v_fmac_f16_e32 v14, 0x3b9c, v19
	v_add_f16_e32 v2, v8, v28
	v_add_f16_e32 v0, v4, v0
	;; [unrolled: 1-line block ×3, first 2 shown]
	v_sub_f16_e32 v33, v21, v5
	v_fmamk_f16 v32, v27, 0xbb9c, v22
	v_add_f16_e32 v1, v1, v7
	v_fmac_f16_e32 v31, 0xb8b4, v37
	v_add_f16_e32 v38, v10, v11
	v_sub_f16_e32 v39, v8, v10
	v_sub_f16_e32 v42, v9, v11
	;; [unrolled: 1-line block ×3, first 2 shown]
	v_fmac_f16_e32 v22, 0x3b9c, v27
	v_fmac_f16_e32 v14, 0x38b4, v37
	v_add_f16_e32 v2, v9, v2
	v_add_f16_e32 v0, v6, v0
	;; [unrolled: 1-line block ×3, first 2 shown]
	v_sub_f16_e32 v8, v8, v9
	v_fma_f16 v9, -0.5, v28, v16
	v_sub_f16_e32 v43, v21, v20
	v_sub_f16_e32 v44, v5, v3
	v_fmamk_f16 v47, v33, 0x3b9c, v40
	v_fmac_f16_e32 v40, 0xbb9c, v33
	v_sub_f16_e32 v23, v20, v21
	v_sub_f16_e32 v34, v3, v5
	v_fmac_f16_e32 v32, 0xb8b4, v33
	v_fmac_f16_e32 v35, 0x38b4, v36
	;; [unrolled: 1-line block ×3, first 2 shown]
	v_fma_f16 v38, -0.5, v38, v30
	v_fmac_f16_e32 v22, 0x38b4, v33
	v_fmac_f16_e32 v24, 0xb8b4, v36
	;; [unrolled: 1-line block ×3, first 2 shown]
	v_add_f16_e32 v1, v11, v2
	v_fma_f16 v6, -0.5, v6, v16
	v_sub_f16_e32 v10, v10, v11
	v_sub_f16_e32 v11, v12, v15
	;; [unrolled: 1-line block ×3, first 2 shown]
	v_fmamk_f16 v36, v8, 0xbb9c, v9
	v_fmac_f16_e32 v9, 0x3b9c, v8
	v_add_f16_e32 v12, v12, v16
	v_add_f16_e32 v16, v20, v26
	;; [unrolled: 1-line block ×4, first 2 shown]
	v_fmac_f16_e32 v47, 0xb8b4, v27
	v_fmac_f16_e32 v40, 0x38b4, v27
	v_add_f16_e32 v23, v23, v34
	v_fmac_f16_e32 v32, 0x34f2, v29
	v_fmac_f16_e32 v22, 0x34f2, v29
	v_sub_f16_e32 v28, v13, v18
	v_fmamk_f16 v29, v10, 0x3b9c, v6
	v_fmac_f16_e32 v36, 0x38b4, v10
	v_fmac_f16_e32 v9, 0xb8b4, v10
	;; [unrolled: 1-line block ×3, first 2 shown]
	v_add_f16_e32 v10, v15, v12
	v_add_f16_e32 v12, v21, v16
	v_fmamk_f16 v49, v37, 0x3b9c, v38
	v_fmac_f16_e32 v47, 0x34f2, v44
	v_fmac_f16_e32 v38, 0xbb9c, v37
	;; [unrolled: 1-line block ×3, first 2 shown]
	v_sub_f16_e32 v33, v18, v13
	v_fmac_f16_e32 v24, 0x34f2, v23
	v_mul_f16_e32 v4, 0x3a79, v22
	v_add_f16_e32 v11, v11, v28
	v_fmac_f16_e32 v29, 0x38b4, v8
	v_fmac_f16_e32 v6, 0xb8b4, v8
	v_mul_f16_e32 v8, 0xb8b4, v22
	v_add_f16_e32 v10, v18, v10
	v_add_f16_e32 v5, v5, v12
	v_mul_f16_e32 v7, 0xba79, v32
	v_add_f16_e32 v39, v39, v42
	v_fmac_f16_e32 v49, 0xb8b4, v19
	v_fmac_f16_e32 v48, 0x34f2, v43
	v_mul_f16_e32 v42, 0xb4f2, v47
	v_fmac_f16_e32 v38, 0x38b4, v19
	v_fmac_f16_e32 v41, 0x34f2, v43
	v_mul_f16_e32 v27, 0x34f2, v40
	v_mul_f16_e32 v28, 0xb8b4, v32
	v_add_f16_e32 v30, v30, v33
	v_mul_f16_e32 v32, 0xbb9c, v47
	v_mul_f16_e32 v15, 0xbb9c, v40
	v_fmac_f16_e32 v35, 0x34f2, v23
	v_fmac_f16_e32 v4, 0x38b4, v24
	v_add_f16_e32 v0, v17, v0
	v_fmac_f16_e32 v6, 0x34f2, v11
	v_fmac_f16_e32 v8, 0x3a79, v24
	v_add_f16_e32 v10, v13, v10
	v_add_f16_e32 v3, v3, v5
	v_fmac_f16_e32 v49, 0x34f2, v39
	v_fmac_f16_e32 v42, 0x3b9c, v48
	;; [unrolled: 1-line block ×11, first 2 shown]
	v_sub_f16_e32 v19, v14, v4
	v_sub_f16_e32 v23, v1, v0
	;; [unrolled: 1-line block ×3, first 2 shown]
	v_add_f16_e32 v4, v14, v4
	v_add_f16_e32 v0, v1, v0
	;; [unrolled: 1-line block ×4, first 2 shown]
	v_sub_f16_e32 v12, v9, v15
	v_sub_f16_e32 v13, v6, v8
	v_add_f16_e32 v18, v49, v42
	v_add_f16_e32 v20, v38, v27
	;; [unrolled: 1-line block ×4, first 2 shown]
	v_sub_f16_e32 v34, v31, v7
	v_add_f16_e32 v7, v31, v7
	v_add_f16_e32 v6, v29, v28
	v_sub_f16_e32 v17, v38, v27
	v_sub_f16_e32 v2, v49, v42
	;; [unrolled: 1-line block ×4, first 2 shown]
	v_pack_b32_f16 v0, v1, v0
	v_pack_b32_f16 v1, v3, v4
	v_add_nc_u32_e32 v3, 0x200, v61
	v_pack_b32_f16 v4, v8, v20
	v_pack_b32_f16 v8, v9, v18
	v_add_nc_u32_e32 v9, 0x900, v61
	;; [unrolled: 3-line block ×5, first 2 shown]
	ds_store_2addr_b32 v3, v0, v1 offset0:42 offset1:246
	ds_store_2addr_b32 v9, v4, v8 offset0:2 offset1:206
	;; [unrolled: 1-line block ×5, first 2 shown]
.LBB0_21:
	s_wait_alu 0xfffe
	s_or_b32 exec_lo, exec_lo, s1
	global_wb scope:SCOPE_SE
	s_wait_dscnt 0x0
	s_barrier_signal -1
	s_barrier_wait -1
	global_inv scope:SCOPE_SE
	s_and_b32 exec_lo, exec_lo, vcc_lo
	s_cbranch_execz .LBB0_23
; %bb.22:
	global_load_b32 v0, v59, s[12:13]
	ds_load_b32 v1, v61
	s_mov_b32 s8, 0x10101010
	s_mov_b32 s9, 0x3f401010
	v_mad_co_u64_u32 v[6:7], null, s4, v60, 0
	s_wait_dscnt 0x0
	v_lshrrev_b32_e32 v2, 16, v1
	s_wait_loadcnt 0x0
	v_lshrrev_b32_e32 v3, 16, v0
	s_delay_alu instid0(VALU_DEP_1) | instskip(SKIP_1) | instid1(VALU_DEP_2)
	v_mul_f16_e32 v4, v2, v3
	v_mul_f16_e32 v3, v1, v3
	v_fmac_f16_e32 v4, v1, v0
	s_delay_alu instid0(VALU_DEP_2) | instskip(NEXT) | instid1(VALU_DEP_2)
	v_fma_f16 v0, v0, v2, -v3
	v_cvt_f32_f16_e32 v1, v4
	s_delay_alu instid0(VALU_DEP_2) | instskip(SKIP_1) | instid1(VALU_DEP_3)
	v_cvt_f32_f16_e32 v2, v0
	v_mad_co_u64_u32 v[4:5], null, s6, v252, 0
	v_cvt_f64_f32_e32 v[0:1], v1
	s_delay_alu instid0(VALU_DEP_3) | instskip(SKIP_1) | instid1(VALU_DEP_2)
	v_cvt_f64_f32_e32 v[2:3], v2
	s_wait_alu 0xfffe
	v_mul_f64_e32 v[0:1], s[8:9], v[0:1]
	s_delay_alu instid0(VALU_DEP_2) | instskip(NEXT) | instid1(VALU_DEP_2)
	v_mul_f64_e32 v[2:3], s[8:9], v[2:3]
	v_and_or_b32 v0, 0x1ff, v1, v0
	s_delay_alu instid0(VALU_DEP_2)
	v_and_or_b32 v2, 0x1ff, v3, v2
	v_lshrrev_b32_e32 v8, 8, v1
	v_bfe_u32 v10, v1, 20, 11
	v_lshrrev_b32_e32 v9, 8, v3
	v_cmp_ne_u32_e32 vcc_lo, 0, v0
	v_bfe_u32 v11, v3, 20, 11
	v_mov_b32_e32 v0, v7
	v_sub_nc_u32_e32 v13, 0x3f1, v10
	v_add_nc_u32_e32 v10, 0xfffffc10, v10
	v_cndmask_b32_e64 v12, 0, 1, vcc_lo
	v_cmp_ne_u32_e32 vcc_lo, 0, v2
	v_sub_nc_u32_e32 v14, 0x3f1, v11
	v_med3_i32 v13, v13, 0, 13
	v_lshrrev_b32_e32 v3, 16, v3
	v_and_or_b32 v12, 0xffe, v8, v12
	s_wait_alu 0xfffd
	v_cndmask_b32_e64 v2, 0, 1, vcc_lo
	v_mad_co_u64_u32 v[7:8], null, s7, v252, v[5:6]
	v_med3_i32 v14, v14, 0, 13
	v_or_b32_e32 v15, 0x1000, v12
	s_delay_alu instid0(VALU_DEP_4) | instskip(SKIP_1) | instid1(VALU_DEP_4)
	v_and_or_b32 v2, 0xffe, v9, v2
	s_mul_u64 s[6:7], s[4:5], 0x1e0
	v_mov_b32_e32 v5, v7
	s_delay_alu instid0(VALU_DEP_2) | instskip(SKIP_3) | instid1(VALU_DEP_4)
	v_or_b32_e32 v16, 0x1000, v2
	v_mad_co_u64_u32 v[8:9], null, s5, v60, v[0:1]
	v_lshrrev_b32_e32 v0, v13, v15
	v_lshrrev_b32_e32 v1, 16, v1
	;; [unrolled: 1-line block ×3, first 2 shown]
	v_lshlrev_b64_e32 v[4:5], 2, v[4:5]
	s_delay_alu instid0(VALU_DEP_4) | instskip(NEXT) | instid1(VALU_DEP_3)
	v_lshlrev_b32_e32 v13, v13, v0
	v_dual_mov_b32 v7, v8 :: v_dual_lshlrev_b32 v8, v14, v9
	v_lshl_or_b32 v14, v10, 12, v12
	s_delay_alu instid0(VALU_DEP_3) | instskip(NEXT) | instid1(VALU_DEP_3)
	v_cmp_ne_u32_e32 vcc_lo, v13, v15
	v_lshlrev_b64_e32 v[6:7], 2, v[6:7]
	s_wait_alu 0xfffd
	v_cndmask_b32_e64 v13, 0, 1, vcc_lo
	v_cmp_ne_u32_e32 vcc_lo, v8, v16
	s_delay_alu instid0(VALU_DEP_2) | instskip(SKIP_4) | instid1(VALU_DEP_3)
	v_or_b32_e32 v0, v0, v13
	s_wait_alu 0xfffd
	v_cndmask_b32_e64 v8, 0, 1, vcc_lo
	v_cmp_gt_i32_e32 vcc_lo, 1, v10
	v_add_nc_u32_e32 v11, 0xfffffc10, v11
	v_or_b32_e32 v8, v9, v8
	s_wait_alu 0xfffd
	v_cndmask_b32_e32 v0, v14, v0, vcc_lo
	s_delay_alu instid0(VALU_DEP_3) | instskip(SKIP_2) | instid1(VALU_DEP_2)
	v_lshl_or_b32 v13, v11, 12, v2
	v_cmp_gt_i32_e32 vcc_lo, 1, v11
	s_wait_alu 0xfffd
	v_cndmask_b32_e32 v8, v13, v8, vcc_lo
	v_cmp_ne_u32_e32 vcc_lo, 0, v12
	v_and_b32_e32 v12, 7, v0
	v_lshrrev_b32_e32 v0, 2, v0
	s_wait_alu 0xfffd
	v_cndmask_b32_e64 v9, 0, 1, vcc_lo
	v_cmp_ne_u32_e32 vcc_lo, 0, v2
	v_cmp_eq_u32_e64 s0, 3, v12
	s_delay_alu instid0(VALU_DEP_3) | instskip(SKIP_3) | instid1(VALU_DEP_2)
	v_lshl_or_b32 v9, v9, 9, 0x7c00
	s_wait_alu 0xfffd
	v_cndmask_b32_e64 v2, 0, 1, vcc_lo
	v_cmp_lt_i32_e32 vcc_lo, 5, v12
	v_lshl_or_b32 v2, v2, 9, 0x7c00
	v_and_b32_e32 v13, 7, v8
	v_lshrrev_b32_e32 v8, 2, v8
	s_or_b32 vcc_lo, s0, vcc_lo
	s_wait_alu 0xfffe
	v_add_co_ci_u32_e32 v0, vcc_lo, 0, v0, vcc_lo
	v_cmp_lt_i32_e64 s1, 5, v13
	v_cmp_eq_u32_e64 s2, 3, v13
	s_delay_alu instid0(VALU_DEP_1)
	s_or_b32 vcc_lo, s2, s1
	s_wait_alu 0xfffe
	v_add_co_ci_u32_e32 v8, vcc_lo, 0, v8, vcc_lo
	v_cmp_gt_i32_e32 vcc_lo, 31, v10
	s_wait_alu 0xfffd
	v_cndmask_b32_e32 v0, 0x7c00, v0, vcc_lo
	v_cmp_gt_i32_e32 vcc_lo, 31, v11
	s_wait_alu 0xfffd
	v_cndmask_b32_e32 v8, 0x7c00, v8, vcc_lo
	v_cmp_eq_u32_e32 vcc_lo, 0x40f, v10
	s_wait_alu 0xfffd
	v_cndmask_b32_e32 v0, v0, v9, vcc_lo
	v_cmp_eq_u32_e32 vcc_lo, 0x40f, v11
	s_wait_alu 0xfffd
	v_cndmask_b32_e32 v2, v8, v2, vcc_lo
	s_delay_alu instid0(VALU_DEP_3)
	v_and_or_b32 v8, 0x8000, v1, v0
	v_add_co_u32 v0, vcc_lo, s14, v4
	s_wait_alu 0xfffd
	v_add_co_ci_u32_e32 v1, vcc_lo, s15, v5, vcc_lo
	v_and_or_b32 v4, 0x8000, v3, v2
	v_and_b32_e32 v5, 0xffff, v8
	v_add_co_u32 v2, vcc_lo, v0, v6
	s_wait_alu 0xfffd
	v_add_co_ci_u32_e32 v3, vcc_lo, v1, v7, vcc_lo
	s_delay_alu instid0(VALU_DEP_3)
	v_lshl_or_b32 v4, v4, 16, v5
	global_store_b32 v[2:3], v4, off
	global_load_b32 v6, v59, s[12:13] offset:480
	ds_load_2addr_b32 v[4:5], v59 offset0:120 offset1:240
	s_wait_dscnt 0x0
	v_lshrrev_b32_e32 v7, 16, v4
	s_wait_loadcnt 0x0
	v_lshrrev_b32_e32 v8, 16, v6
	s_delay_alu instid0(VALU_DEP_1) | instskip(SKIP_1) | instid1(VALU_DEP_2)
	v_mul_f16_e32 v9, v7, v8
	v_mul_f16_e32 v8, v4, v8
	v_fmac_f16_e32 v9, v4, v6
	s_delay_alu instid0(VALU_DEP_2) | instskip(NEXT) | instid1(VALU_DEP_2)
	v_fma_f16 v4, v6, v7, -v8
	v_cvt_f32_f16_e32 v6, v9
	s_delay_alu instid0(VALU_DEP_2) | instskip(NEXT) | instid1(VALU_DEP_2)
	v_cvt_f32_f16_e32 v4, v4
	v_cvt_f64_f32_e32 v[6:7], v6
	s_delay_alu instid0(VALU_DEP_2) | instskip(NEXT) | instid1(VALU_DEP_2)
	v_cvt_f64_f32_e32 v[8:9], v4
	v_mul_f64_e32 v[6:7], s[8:9], v[6:7]
	s_delay_alu instid0(VALU_DEP_2) | instskip(NEXT) | instid1(VALU_DEP_2)
	v_mul_f64_e32 v[8:9], s[8:9], v[8:9]
	v_and_or_b32 v4, 0x1ff, v7, v6
	s_delay_alu instid0(VALU_DEP_2)
	v_and_or_b32 v8, 0x1ff, v9, v8
	v_lshrrev_b32_e32 v6, 8, v7
	v_bfe_u32 v10, v7, 20, 11
	v_lshrrev_b32_e32 v11, 8, v9
	v_cmp_ne_u32_e32 vcc_lo, 0, v4
	v_bfe_u32 v12, v9, 20, 11
	v_lshrrev_b32_e32 v7, 16, v7
	v_sub_nc_u32_e32 v13, 0x3f1, v10
	v_add_nc_u32_e32 v10, 0xfffffc10, v10
	s_wait_alu 0xfffd
	v_cndmask_b32_e64 v4, 0, 1, vcc_lo
	v_cmp_ne_u32_e32 vcc_lo, 0, v8
	v_lshrrev_b32_e32 v9, 16, v9
	s_delay_alu instid0(VALU_DEP_3) | instskip(SKIP_4) | instid1(VALU_DEP_3)
	v_and_or_b32 v4, 0xffe, v6, v4
	s_wait_alu 0xfffd
	v_cndmask_b32_e64 v8, 0, 1, vcc_lo
	v_sub_nc_u32_e32 v6, 0x3f1, v12
	v_add_nc_u32_e32 v12, 0xfffffc10, v12
	v_and_or_b32 v8, 0xffe, v11, v8
	v_med3_i32 v11, v13, 0, 13
	v_or_b32_e32 v13, 0x1000, v4
	v_med3_i32 v6, v6, 0, 13
	s_delay_alu instid0(VALU_DEP_4) | instskip(NEXT) | instid1(VALU_DEP_3)
	v_or_b32_e32 v14, 0x1000, v8
	v_lshrrev_b32_e32 v15, v11, v13
	s_delay_alu instid0(VALU_DEP_2) | instskip(NEXT) | instid1(VALU_DEP_2)
	v_lshrrev_b32_e32 v16, v6, v14
	v_lshlrev_b32_e32 v11, v11, v15
	s_delay_alu instid0(VALU_DEP_2) | instskip(NEXT) | instid1(VALU_DEP_2)
	v_lshlrev_b32_e32 v6, v6, v16
	v_cmp_ne_u32_e32 vcc_lo, v11, v13
	v_lshl_or_b32 v13, v10, 12, v4
	s_wait_alu 0xfffd
	v_cndmask_b32_e64 v11, 0, 1, vcc_lo
	v_cmp_ne_u32_e32 vcc_lo, v6, v14
	v_lshl_or_b32 v14, v12, 12, v8
	s_delay_alu instid0(VALU_DEP_3) | instskip(SKIP_3) | instid1(VALU_DEP_2)
	v_or_b32_e32 v11, v15, v11
	s_wait_alu 0xfffd
	v_cndmask_b32_e64 v6, 0, 1, vcc_lo
	v_cmp_gt_i32_e32 vcc_lo, 1, v10
	v_or_b32_e32 v6, v16, v6
	s_wait_alu 0xfffd
	v_cndmask_b32_e32 v11, v13, v11, vcc_lo
	v_cmp_gt_i32_e32 vcc_lo, 1, v12
	s_wait_alu 0xfffd
	s_delay_alu instid0(VALU_DEP_2) | instskip(SKIP_2) | instid1(VALU_DEP_3)
	v_dual_cndmask_b32 v6, v14, v6 :: v_dual_and_b32 v13, 7, v11
	v_cmp_ne_u32_e32 vcc_lo, 0, v4
	v_lshrrev_b32_e32 v11, 2, v11
	v_cmp_eq_u32_e64 s0, 3, v13
	s_delay_alu instid0(VALU_DEP_4)
	v_and_b32_e32 v14, 7, v6
	s_wait_alu 0xfffd
	v_cndmask_b32_e64 v4, 0, 1, vcc_lo
	v_cmp_ne_u32_e32 vcc_lo, 0, v8
	v_lshrrev_b32_e32 v6, 2, v6
	v_cmp_lt_i32_e64 s1, 5, v14
	v_cmp_eq_u32_e64 s2, 3, v14
	s_wait_alu 0xfffd
	v_cndmask_b32_e64 v8, 0, 1, vcc_lo
	v_cmp_lt_i32_e32 vcc_lo, 5, v13
	v_lshl_or_b32 v4, v4, 9, 0x7c00
	s_delay_alu instid0(VALU_DEP_3)
	v_lshl_or_b32 v8, v8, 9, 0x7c00
	s_or_b32 vcc_lo, s0, vcc_lo
	s_wait_alu 0xfffe
	v_add_co_ci_u32_e32 v11, vcc_lo, 0, v11, vcc_lo
	s_or_b32 vcc_lo, s2, s1
	s_wait_alu 0xfffe
	v_add_co_ci_u32_e32 v6, vcc_lo, 0, v6, vcc_lo
	v_cmp_gt_i32_e32 vcc_lo, 31, v10
	s_wait_alu 0xfffd
	v_cndmask_b32_e32 v11, 0x7c00, v11, vcc_lo
	v_cmp_gt_i32_e32 vcc_lo, 31, v12
	s_wait_alu 0xfffd
	v_cndmask_b32_e32 v6, 0x7c00, v6, vcc_lo
	v_cmp_eq_u32_e32 vcc_lo, 0x40f, v10
	s_wait_alu 0xfffd
	v_cndmask_b32_e32 v4, v11, v4, vcc_lo
	v_cmp_eq_u32_e32 vcc_lo, 0x40f, v12
	s_delay_alu instid0(VALU_DEP_2)
	v_and_or_b32 v4, 0x8000, v7, v4
	s_wait_alu 0xfffd
	v_cndmask_b32_e32 v6, v6, v8, vcc_lo
	v_add_co_u32 v2, vcc_lo, v2, s6
	s_wait_alu 0xfffd
	v_add_co_ci_u32_e32 v3, vcc_lo, s7, v3, vcc_lo
	s_delay_alu instid0(VALU_DEP_3) | instskip(SKIP_1) | instid1(VALU_DEP_1)
	v_and_or_b32 v6, 0x8000, v9, v6
	v_and_b32_e32 v4, 0xffff, v4
	v_lshl_or_b32 v4, v6, 16, v4
	v_lshrrev_b32_e32 v6, 16, v5
	global_store_b32 v[2:3], v4, off
	global_load_b32 v4, v59, s[12:13] offset:960
	s_wait_loadcnt 0x0
	v_lshrrev_b32_e32 v7, 16, v4
	s_delay_alu instid0(VALU_DEP_1) | instskip(SKIP_1) | instid1(VALU_DEP_2)
	v_mul_f16_e32 v8, v6, v7
	v_mul_f16_e32 v7, v5, v7
	v_fmac_f16_e32 v8, v5, v4
	s_delay_alu instid0(VALU_DEP_2) | instskip(NEXT) | instid1(VALU_DEP_2)
	v_fma_f16 v4, v4, v6, -v7
	v_cvt_f32_f16_e32 v5, v8
	s_delay_alu instid0(VALU_DEP_2) | instskip(NEXT) | instid1(VALU_DEP_2)
	v_cvt_f32_f16_e32 v6, v4
	v_cvt_f64_f32_e32 v[4:5], v5
	s_delay_alu instid0(VALU_DEP_2) | instskip(NEXT) | instid1(VALU_DEP_2)
	v_cvt_f64_f32_e32 v[6:7], v6
	v_mul_f64_e32 v[4:5], s[8:9], v[4:5]
	s_delay_alu instid0(VALU_DEP_2) | instskip(NEXT) | instid1(VALU_DEP_2)
	v_mul_f64_e32 v[6:7], s[8:9], v[6:7]
	v_and_or_b32 v4, 0x1ff, v5, v4
	s_delay_alu instid0(VALU_DEP_2)
	v_and_or_b32 v6, 0x1ff, v7, v6
	v_lshrrev_b32_e32 v8, 8, v5
	v_bfe_u32 v9, v5, 20, 11
	v_lshrrev_b32_e32 v10, 8, v7
	v_cmp_ne_u32_e32 vcc_lo, 0, v4
	v_bfe_u32 v11, v7, 20, 11
	v_lshrrev_b32_e32 v5, 16, v5
	v_sub_nc_u32_e32 v12, 0x3f1, v9
	v_add_nc_u32_e32 v9, 0xfffffc10, v9
	s_wait_alu 0xfffd
	v_cndmask_b32_e64 v4, 0, 1, vcc_lo
	v_cmp_ne_u32_e32 vcc_lo, 0, v6
	v_lshrrev_b32_e32 v7, 16, v7
	s_delay_alu instid0(VALU_DEP_3) | instskip(SKIP_4) | instid1(VALU_DEP_3)
	v_and_or_b32 v4, 0xffe, v8, v4
	s_wait_alu 0xfffd
	v_cndmask_b32_e64 v6, 0, 1, vcc_lo
	v_sub_nc_u32_e32 v8, 0x3f1, v11
	v_add_nc_u32_e32 v11, 0xfffffc10, v11
	v_and_or_b32 v6, 0xffe, v10, v6
	v_med3_i32 v10, v12, 0, 13
	v_or_b32_e32 v12, 0x1000, v4
	v_med3_i32 v8, v8, 0, 13
	s_delay_alu instid0(VALU_DEP_4) | instskip(NEXT) | instid1(VALU_DEP_3)
	v_or_b32_e32 v13, 0x1000, v6
	v_lshrrev_b32_e32 v14, v10, v12
	s_delay_alu instid0(VALU_DEP_2) | instskip(NEXT) | instid1(VALU_DEP_2)
	v_lshrrev_b32_e32 v15, v8, v13
	v_lshlrev_b32_e32 v10, v10, v14
	s_delay_alu instid0(VALU_DEP_2) | instskip(NEXT) | instid1(VALU_DEP_2)
	v_lshlrev_b32_e32 v8, v8, v15
	v_cmp_ne_u32_e32 vcc_lo, v10, v12
	v_lshl_or_b32 v12, v9, 12, v4
	s_wait_alu 0xfffd
	v_cndmask_b32_e64 v10, 0, 1, vcc_lo
	v_cmp_ne_u32_e32 vcc_lo, v8, v13
	v_lshl_or_b32 v13, v11, 12, v6
	s_delay_alu instid0(VALU_DEP_3) | instskip(SKIP_3) | instid1(VALU_DEP_2)
	v_or_b32_e32 v10, v14, v10
	s_wait_alu 0xfffd
	v_cndmask_b32_e64 v8, 0, 1, vcc_lo
	v_cmp_gt_i32_e32 vcc_lo, 1, v9
	v_or_b32_e32 v8, v15, v8
	s_wait_alu 0xfffd
	v_cndmask_b32_e32 v10, v12, v10, vcc_lo
	v_cmp_gt_i32_e32 vcc_lo, 1, v11
	s_delay_alu instid0(VALU_DEP_2)
	v_and_b32_e32 v12, 7, v10
	s_wait_alu 0xfffd
	v_cndmask_b32_e32 v8, v13, v8, vcc_lo
	v_cmp_ne_u32_e32 vcc_lo, 0, v4
	v_lshrrev_b32_e32 v10, 2, v10
	v_cmp_eq_u32_e64 s0, 3, v12
	s_delay_alu instid0(VALU_DEP_4)
	v_and_b32_e32 v13, 7, v8
	s_wait_alu 0xfffd
	v_cndmask_b32_e64 v4, 0, 1, vcc_lo
	v_cmp_ne_u32_e32 vcc_lo, 0, v6
	v_lshrrev_b32_e32 v8, 2, v8
	v_cmp_lt_i32_e64 s1, 5, v13
	v_cmp_eq_u32_e64 s2, 3, v13
	s_wait_alu 0xfffd
	v_cndmask_b32_e64 v6, 0, 1, vcc_lo
	v_cmp_lt_i32_e32 vcc_lo, 5, v12
	v_lshl_or_b32 v4, v4, 9, 0x7c00
	s_delay_alu instid0(VALU_DEP_3)
	v_lshl_or_b32 v6, v6, 9, 0x7c00
	s_or_b32 vcc_lo, s0, vcc_lo
	s_wait_alu 0xfffe
	v_add_co_ci_u32_e32 v10, vcc_lo, 0, v10, vcc_lo
	s_or_b32 vcc_lo, s2, s1
	s_wait_alu 0xfffe
	v_add_co_ci_u32_e32 v8, vcc_lo, 0, v8, vcc_lo
	v_cmp_gt_i32_e32 vcc_lo, 31, v9
	s_wait_alu 0xfffd
	v_cndmask_b32_e32 v10, 0x7c00, v10, vcc_lo
	v_cmp_gt_i32_e32 vcc_lo, 31, v11
	s_wait_alu 0xfffd
	v_cndmask_b32_e32 v8, 0x7c00, v8, vcc_lo
	v_cmp_eq_u32_e32 vcc_lo, 0x40f, v9
	s_wait_alu 0xfffd
	v_cndmask_b32_e32 v4, v10, v4, vcc_lo
	v_cmp_eq_u32_e32 vcc_lo, 0x40f, v11
	s_delay_alu instid0(VALU_DEP_2)
	v_and_or_b32 v4, 0x8000, v5, v4
	s_wait_alu 0xfffd
	v_cndmask_b32_e32 v6, v8, v6, vcc_lo
	v_add_co_u32 v2, vcc_lo, v2, s6
	s_wait_alu 0xfffd
	v_add_co_ci_u32_e32 v3, vcc_lo, s7, v3, vcc_lo
	s_delay_alu instid0(VALU_DEP_3) | instskip(SKIP_1) | instid1(VALU_DEP_1)
	v_and_or_b32 v5, 0x8000, v7, v6
	v_and_b32_e32 v4, 0xffff, v4
	v_lshl_or_b32 v4, v5, 16, v4
	global_store_b32 v[2:3], v4, off
	global_load_b32 v6, v59, s[12:13] offset:1440
	v_add_nc_u32_e32 v4, 0x400, v59
	ds_load_2addr_b32 v[4:5], v4 offset0:104 offset1:224
	s_wait_dscnt 0x0
	v_lshrrev_b32_e32 v7, 16, v4
	s_wait_loadcnt 0x0
	v_lshrrev_b32_e32 v8, 16, v6
	s_delay_alu instid0(VALU_DEP_1) | instskip(SKIP_1) | instid1(VALU_DEP_2)
	v_mul_f16_e32 v9, v7, v8
	v_mul_f16_e32 v8, v4, v8
	v_fmac_f16_e32 v9, v4, v6
	s_delay_alu instid0(VALU_DEP_2) | instskip(NEXT) | instid1(VALU_DEP_2)
	v_fma_f16 v4, v6, v7, -v8
	v_cvt_f32_f16_e32 v6, v9
	s_delay_alu instid0(VALU_DEP_2) | instskip(NEXT) | instid1(VALU_DEP_2)
	v_cvt_f32_f16_e32 v4, v4
	v_cvt_f64_f32_e32 v[6:7], v6
	s_delay_alu instid0(VALU_DEP_2) | instskip(NEXT) | instid1(VALU_DEP_2)
	v_cvt_f64_f32_e32 v[8:9], v4
	v_mul_f64_e32 v[6:7], s[8:9], v[6:7]
	s_delay_alu instid0(VALU_DEP_2) | instskip(NEXT) | instid1(VALU_DEP_2)
	v_mul_f64_e32 v[8:9], s[8:9], v[8:9]
	v_and_or_b32 v4, 0x1ff, v7, v6
	s_delay_alu instid0(VALU_DEP_2)
	v_and_or_b32 v8, 0x1ff, v9, v8
	v_lshrrev_b32_e32 v6, 8, v7
	v_bfe_u32 v10, v7, 20, 11
	v_lshrrev_b32_e32 v11, 8, v9
	v_cmp_ne_u32_e32 vcc_lo, 0, v4
	v_bfe_u32 v12, v9, 20, 11
	v_lshrrev_b32_e32 v7, 16, v7
	v_sub_nc_u32_e32 v13, 0x3f1, v10
	v_add_nc_u32_e32 v10, 0xfffffc10, v10
	s_wait_alu 0xfffd
	v_cndmask_b32_e64 v4, 0, 1, vcc_lo
	v_cmp_ne_u32_e32 vcc_lo, 0, v8
	v_lshrrev_b32_e32 v9, 16, v9
	s_delay_alu instid0(VALU_DEP_3) | instskip(SKIP_4) | instid1(VALU_DEP_3)
	v_and_or_b32 v4, 0xffe, v6, v4
	s_wait_alu 0xfffd
	v_cndmask_b32_e64 v8, 0, 1, vcc_lo
	v_sub_nc_u32_e32 v6, 0x3f1, v12
	v_add_nc_u32_e32 v12, 0xfffffc10, v12
	v_and_or_b32 v8, 0xffe, v11, v8
	v_med3_i32 v11, v13, 0, 13
	v_or_b32_e32 v13, 0x1000, v4
	v_med3_i32 v6, v6, 0, 13
	s_delay_alu instid0(VALU_DEP_4) | instskip(NEXT) | instid1(VALU_DEP_3)
	v_or_b32_e32 v14, 0x1000, v8
	v_lshrrev_b32_e32 v15, v11, v13
	s_delay_alu instid0(VALU_DEP_2) | instskip(NEXT) | instid1(VALU_DEP_2)
	v_lshrrev_b32_e32 v16, v6, v14
	v_lshlrev_b32_e32 v11, v11, v15
	s_delay_alu instid0(VALU_DEP_2) | instskip(NEXT) | instid1(VALU_DEP_2)
	v_lshlrev_b32_e32 v6, v6, v16
	v_cmp_ne_u32_e32 vcc_lo, v11, v13
	v_lshl_or_b32 v13, v10, 12, v4
	s_wait_alu 0xfffd
	v_cndmask_b32_e64 v11, 0, 1, vcc_lo
	v_cmp_ne_u32_e32 vcc_lo, v6, v14
	v_lshl_or_b32 v14, v12, 12, v8
	s_delay_alu instid0(VALU_DEP_3) | instskip(SKIP_3) | instid1(VALU_DEP_2)
	v_or_b32_e32 v11, v15, v11
	s_wait_alu 0xfffd
	v_cndmask_b32_e64 v6, 0, 1, vcc_lo
	v_cmp_gt_i32_e32 vcc_lo, 1, v10
	v_or_b32_e32 v6, v16, v6
	s_wait_alu 0xfffd
	v_cndmask_b32_e32 v11, v13, v11, vcc_lo
	v_cmp_gt_i32_e32 vcc_lo, 1, v12
	s_wait_alu 0xfffd
	s_delay_alu instid0(VALU_DEP_2) | instskip(SKIP_2) | instid1(VALU_DEP_3)
	v_dual_cndmask_b32 v6, v14, v6 :: v_dual_and_b32 v13, 7, v11
	v_cmp_ne_u32_e32 vcc_lo, 0, v4
	v_lshrrev_b32_e32 v11, 2, v11
	v_cmp_eq_u32_e64 s0, 3, v13
	s_delay_alu instid0(VALU_DEP_4)
	v_and_b32_e32 v14, 7, v6
	s_wait_alu 0xfffd
	v_cndmask_b32_e64 v4, 0, 1, vcc_lo
	v_cmp_ne_u32_e32 vcc_lo, 0, v8
	v_lshrrev_b32_e32 v6, 2, v6
	v_cmp_lt_i32_e64 s1, 5, v14
	v_cmp_eq_u32_e64 s2, 3, v14
	s_wait_alu 0xfffd
	v_cndmask_b32_e64 v8, 0, 1, vcc_lo
	v_cmp_lt_i32_e32 vcc_lo, 5, v13
	v_lshl_or_b32 v4, v4, 9, 0x7c00
	s_delay_alu instid0(VALU_DEP_3)
	v_lshl_or_b32 v8, v8, 9, 0x7c00
	s_or_b32 vcc_lo, s0, vcc_lo
	s_wait_alu 0xfffe
	v_add_co_ci_u32_e32 v11, vcc_lo, 0, v11, vcc_lo
	s_or_b32 vcc_lo, s2, s1
	s_wait_alu 0xfffe
	v_add_co_ci_u32_e32 v6, vcc_lo, 0, v6, vcc_lo
	v_cmp_gt_i32_e32 vcc_lo, 31, v10
	s_wait_alu 0xfffd
	v_cndmask_b32_e32 v11, 0x7c00, v11, vcc_lo
	v_cmp_gt_i32_e32 vcc_lo, 31, v12
	s_wait_alu 0xfffd
	v_cndmask_b32_e32 v6, 0x7c00, v6, vcc_lo
	v_cmp_eq_u32_e32 vcc_lo, 0x40f, v10
	s_wait_alu 0xfffd
	v_cndmask_b32_e32 v4, v11, v4, vcc_lo
	v_cmp_eq_u32_e32 vcc_lo, 0x40f, v12
	s_delay_alu instid0(VALU_DEP_2)
	v_and_or_b32 v4, 0x8000, v7, v4
	s_wait_alu 0xfffd
	v_cndmask_b32_e32 v6, v6, v8, vcc_lo
	v_add_co_u32 v2, vcc_lo, v2, s6
	s_wait_alu 0xfffd
	v_add_co_ci_u32_e32 v3, vcc_lo, s7, v3, vcc_lo
	s_delay_alu instid0(VALU_DEP_3) | instskip(SKIP_1) | instid1(VALU_DEP_1)
	v_and_or_b32 v6, 0x8000, v9, v6
	v_and_b32_e32 v4, 0xffff, v4
	v_lshl_or_b32 v4, v6, 16, v4
	v_lshrrev_b32_e32 v6, 16, v5
	global_store_b32 v[2:3], v4, off
	global_load_b32 v4, v59, s[12:13] offset:1920
	s_wait_loadcnt 0x0
	v_lshrrev_b32_e32 v7, 16, v4
	s_delay_alu instid0(VALU_DEP_1) | instskip(SKIP_1) | instid1(VALU_DEP_2)
	v_mul_f16_e32 v8, v6, v7
	v_mul_f16_e32 v7, v5, v7
	v_fmac_f16_e32 v8, v5, v4
	s_delay_alu instid0(VALU_DEP_2) | instskip(NEXT) | instid1(VALU_DEP_2)
	v_fma_f16 v4, v4, v6, -v7
	v_cvt_f32_f16_e32 v5, v8
	s_delay_alu instid0(VALU_DEP_2) | instskip(NEXT) | instid1(VALU_DEP_2)
	v_cvt_f32_f16_e32 v6, v4
	v_cvt_f64_f32_e32 v[4:5], v5
	s_delay_alu instid0(VALU_DEP_2) | instskip(NEXT) | instid1(VALU_DEP_2)
	v_cvt_f64_f32_e32 v[6:7], v6
	v_mul_f64_e32 v[4:5], s[8:9], v[4:5]
	s_delay_alu instid0(VALU_DEP_2) | instskip(NEXT) | instid1(VALU_DEP_2)
	v_mul_f64_e32 v[6:7], s[8:9], v[6:7]
	v_and_or_b32 v4, 0x1ff, v5, v4
	s_delay_alu instid0(VALU_DEP_2)
	v_and_or_b32 v6, 0x1ff, v7, v6
	v_lshrrev_b32_e32 v8, 8, v5
	v_bfe_u32 v9, v5, 20, 11
	v_lshrrev_b32_e32 v10, 8, v7
	v_cmp_ne_u32_e32 vcc_lo, 0, v4
	v_bfe_u32 v11, v7, 20, 11
	v_lshrrev_b32_e32 v5, 16, v5
	v_sub_nc_u32_e32 v12, 0x3f1, v9
	v_add_nc_u32_e32 v9, 0xfffffc10, v9
	s_wait_alu 0xfffd
	v_cndmask_b32_e64 v4, 0, 1, vcc_lo
	v_cmp_ne_u32_e32 vcc_lo, 0, v6
	v_lshrrev_b32_e32 v7, 16, v7
	s_delay_alu instid0(VALU_DEP_3) | instskip(SKIP_4) | instid1(VALU_DEP_3)
	v_and_or_b32 v4, 0xffe, v8, v4
	s_wait_alu 0xfffd
	v_cndmask_b32_e64 v6, 0, 1, vcc_lo
	v_sub_nc_u32_e32 v8, 0x3f1, v11
	v_add_nc_u32_e32 v11, 0xfffffc10, v11
	v_and_or_b32 v6, 0xffe, v10, v6
	v_med3_i32 v10, v12, 0, 13
	v_or_b32_e32 v12, 0x1000, v4
	v_med3_i32 v8, v8, 0, 13
	s_delay_alu instid0(VALU_DEP_4) | instskip(NEXT) | instid1(VALU_DEP_3)
	v_or_b32_e32 v13, 0x1000, v6
	v_lshrrev_b32_e32 v14, v10, v12
	s_delay_alu instid0(VALU_DEP_2) | instskip(NEXT) | instid1(VALU_DEP_2)
	v_lshrrev_b32_e32 v15, v8, v13
	v_lshlrev_b32_e32 v10, v10, v14
	s_delay_alu instid0(VALU_DEP_2) | instskip(NEXT) | instid1(VALU_DEP_2)
	v_lshlrev_b32_e32 v8, v8, v15
	v_cmp_ne_u32_e32 vcc_lo, v10, v12
	v_lshl_or_b32 v12, v9, 12, v4
	s_wait_alu 0xfffd
	v_cndmask_b32_e64 v10, 0, 1, vcc_lo
	v_cmp_ne_u32_e32 vcc_lo, v8, v13
	v_lshl_or_b32 v13, v11, 12, v6
	s_delay_alu instid0(VALU_DEP_3) | instskip(SKIP_3) | instid1(VALU_DEP_2)
	v_or_b32_e32 v10, v14, v10
	s_wait_alu 0xfffd
	v_cndmask_b32_e64 v8, 0, 1, vcc_lo
	v_cmp_gt_i32_e32 vcc_lo, 1, v9
	v_or_b32_e32 v8, v15, v8
	s_wait_alu 0xfffd
	v_cndmask_b32_e32 v10, v12, v10, vcc_lo
	v_cmp_gt_i32_e32 vcc_lo, 1, v11
	s_delay_alu instid0(VALU_DEP_2)
	v_and_b32_e32 v12, 7, v10
	s_wait_alu 0xfffd
	v_cndmask_b32_e32 v8, v13, v8, vcc_lo
	v_cmp_ne_u32_e32 vcc_lo, 0, v4
	v_lshrrev_b32_e32 v10, 2, v10
	v_cmp_eq_u32_e64 s0, 3, v12
	s_delay_alu instid0(VALU_DEP_4)
	v_and_b32_e32 v13, 7, v8
	s_wait_alu 0xfffd
	v_cndmask_b32_e64 v4, 0, 1, vcc_lo
	v_cmp_ne_u32_e32 vcc_lo, 0, v6
	v_lshrrev_b32_e32 v8, 2, v8
	v_cmp_lt_i32_e64 s1, 5, v13
	v_cmp_eq_u32_e64 s2, 3, v13
	s_wait_alu 0xfffd
	v_cndmask_b32_e64 v6, 0, 1, vcc_lo
	v_cmp_lt_i32_e32 vcc_lo, 5, v12
	v_lshl_or_b32 v4, v4, 9, 0x7c00
	s_delay_alu instid0(VALU_DEP_3)
	v_lshl_or_b32 v6, v6, 9, 0x7c00
	s_or_b32 vcc_lo, s0, vcc_lo
	s_wait_alu 0xfffe
	v_add_co_ci_u32_e32 v10, vcc_lo, 0, v10, vcc_lo
	s_or_b32 vcc_lo, s2, s1
	s_wait_alu 0xfffe
	v_add_co_ci_u32_e32 v8, vcc_lo, 0, v8, vcc_lo
	v_cmp_gt_i32_e32 vcc_lo, 31, v9
	s_wait_alu 0xfffd
	v_cndmask_b32_e32 v10, 0x7c00, v10, vcc_lo
	v_cmp_gt_i32_e32 vcc_lo, 31, v11
	s_wait_alu 0xfffd
	v_cndmask_b32_e32 v8, 0x7c00, v8, vcc_lo
	v_cmp_eq_u32_e32 vcc_lo, 0x40f, v9
	s_wait_alu 0xfffd
	v_cndmask_b32_e32 v4, v10, v4, vcc_lo
	v_cmp_eq_u32_e32 vcc_lo, 0x40f, v11
	s_delay_alu instid0(VALU_DEP_2)
	v_and_or_b32 v4, 0x8000, v5, v4
	s_wait_alu 0xfffd
	v_cndmask_b32_e32 v6, v8, v6, vcc_lo
	v_add_co_u32 v2, vcc_lo, v2, s6
	s_wait_alu 0xfffd
	v_add_co_ci_u32_e32 v3, vcc_lo, s7, v3, vcc_lo
	s_delay_alu instid0(VALU_DEP_3) | instskip(SKIP_1) | instid1(VALU_DEP_1)
	v_and_or_b32 v5, 0x8000, v7, v6
	v_and_b32_e32 v4, 0xffff, v4
	v_lshl_or_b32 v4, v5, 16, v4
	global_store_b32 v[2:3], v4, off
	global_load_b32 v6, v59, s[12:13] offset:2400
	v_add_nc_u32_e32 v4, 0x800, v59
	ds_load_2addr_b32 v[4:5], v4 offset0:88 offset1:208
	s_wait_dscnt 0x0
	v_lshrrev_b32_e32 v7, 16, v4
	s_wait_loadcnt 0x0
	v_lshrrev_b32_e32 v8, 16, v6
	s_delay_alu instid0(VALU_DEP_1) | instskip(SKIP_1) | instid1(VALU_DEP_2)
	v_mul_f16_e32 v9, v7, v8
	v_mul_f16_e32 v8, v4, v8
	v_fmac_f16_e32 v9, v4, v6
	s_delay_alu instid0(VALU_DEP_2) | instskip(NEXT) | instid1(VALU_DEP_2)
	v_fma_f16 v4, v6, v7, -v8
	v_cvt_f32_f16_e32 v6, v9
	s_delay_alu instid0(VALU_DEP_2) | instskip(NEXT) | instid1(VALU_DEP_2)
	v_cvt_f32_f16_e32 v4, v4
	v_cvt_f64_f32_e32 v[6:7], v6
	s_delay_alu instid0(VALU_DEP_2) | instskip(NEXT) | instid1(VALU_DEP_2)
	v_cvt_f64_f32_e32 v[8:9], v4
	v_mul_f64_e32 v[6:7], s[8:9], v[6:7]
	s_delay_alu instid0(VALU_DEP_2) | instskip(NEXT) | instid1(VALU_DEP_2)
	v_mul_f64_e32 v[8:9], s[8:9], v[8:9]
	v_and_or_b32 v4, 0x1ff, v7, v6
	s_delay_alu instid0(VALU_DEP_2)
	v_and_or_b32 v8, 0x1ff, v9, v8
	v_lshrrev_b32_e32 v6, 8, v7
	v_bfe_u32 v10, v7, 20, 11
	v_lshrrev_b32_e32 v11, 8, v9
	v_cmp_ne_u32_e32 vcc_lo, 0, v4
	v_bfe_u32 v12, v9, 20, 11
	v_lshrrev_b32_e32 v7, 16, v7
	v_sub_nc_u32_e32 v13, 0x3f1, v10
	v_add_nc_u32_e32 v10, 0xfffffc10, v10
	s_wait_alu 0xfffd
	v_cndmask_b32_e64 v4, 0, 1, vcc_lo
	v_cmp_ne_u32_e32 vcc_lo, 0, v8
	v_lshrrev_b32_e32 v9, 16, v9
	s_delay_alu instid0(VALU_DEP_3) | instskip(SKIP_4) | instid1(VALU_DEP_3)
	v_and_or_b32 v4, 0xffe, v6, v4
	s_wait_alu 0xfffd
	v_cndmask_b32_e64 v8, 0, 1, vcc_lo
	v_sub_nc_u32_e32 v6, 0x3f1, v12
	v_add_nc_u32_e32 v12, 0xfffffc10, v12
	v_and_or_b32 v8, 0xffe, v11, v8
	v_med3_i32 v11, v13, 0, 13
	v_or_b32_e32 v13, 0x1000, v4
	v_med3_i32 v6, v6, 0, 13
	s_delay_alu instid0(VALU_DEP_4) | instskip(NEXT) | instid1(VALU_DEP_3)
	v_or_b32_e32 v14, 0x1000, v8
	v_lshrrev_b32_e32 v15, v11, v13
	s_delay_alu instid0(VALU_DEP_2) | instskip(NEXT) | instid1(VALU_DEP_2)
	v_lshrrev_b32_e32 v16, v6, v14
	v_lshlrev_b32_e32 v11, v11, v15
	s_delay_alu instid0(VALU_DEP_2) | instskip(NEXT) | instid1(VALU_DEP_2)
	v_lshlrev_b32_e32 v6, v6, v16
	v_cmp_ne_u32_e32 vcc_lo, v11, v13
	v_lshl_or_b32 v13, v10, 12, v4
	s_wait_alu 0xfffd
	v_cndmask_b32_e64 v11, 0, 1, vcc_lo
	v_cmp_ne_u32_e32 vcc_lo, v6, v14
	v_lshl_or_b32 v14, v12, 12, v8
	s_delay_alu instid0(VALU_DEP_3) | instskip(SKIP_3) | instid1(VALU_DEP_2)
	v_or_b32_e32 v11, v15, v11
	s_wait_alu 0xfffd
	v_cndmask_b32_e64 v6, 0, 1, vcc_lo
	v_cmp_gt_i32_e32 vcc_lo, 1, v10
	v_or_b32_e32 v6, v16, v6
	s_wait_alu 0xfffd
	v_cndmask_b32_e32 v11, v13, v11, vcc_lo
	v_cmp_gt_i32_e32 vcc_lo, 1, v12
	s_wait_alu 0xfffd
	s_delay_alu instid0(VALU_DEP_2) | instskip(SKIP_2) | instid1(VALU_DEP_3)
	v_dual_cndmask_b32 v6, v14, v6 :: v_dual_and_b32 v13, 7, v11
	v_cmp_ne_u32_e32 vcc_lo, 0, v4
	v_lshrrev_b32_e32 v11, 2, v11
	v_cmp_eq_u32_e64 s0, 3, v13
	s_delay_alu instid0(VALU_DEP_4)
	v_and_b32_e32 v14, 7, v6
	s_wait_alu 0xfffd
	v_cndmask_b32_e64 v4, 0, 1, vcc_lo
	v_cmp_ne_u32_e32 vcc_lo, 0, v8
	v_lshrrev_b32_e32 v6, 2, v6
	v_cmp_lt_i32_e64 s1, 5, v14
	v_cmp_eq_u32_e64 s2, 3, v14
	s_wait_alu 0xfffd
	v_cndmask_b32_e64 v8, 0, 1, vcc_lo
	v_cmp_lt_i32_e32 vcc_lo, 5, v13
	v_lshl_or_b32 v4, v4, 9, 0x7c00
	s_delay_alu instid0(VALU_DEP_3)
	v_lshl_or_b32 v8, v8, 9, 0x7c00
	s_or_b32 vcc_lo, s0, vcc_lo
	s_wait_alu 0xfffe
	v_add_co_ci_u32_e32 v11, vcc_lo, 0, v11, vcc_lo
	s_or_b32 vcc_lo, s2, s1
	s_wait_alu 0xfffe
	v_add_co_ci_u32_e32 v6, vcc_lo, 0, v6, vcc_lo
	v_cmp_gt_i32_e32 vcc_lo, 31, v10
	s_wait_alu 0xfffd
	v_cndmask_b32_e32 v11, 0x7c00, v11, vcc_lo
	v_cmp_gt_i32_e32 vcc_lo, 31, v12
	s_wait_alu 0xfffd
	v_cndmask_b32_e32 v6, 0x7c00, v6, vcc_lo
	v_cmp_eq_u32_e32 vcc_lo, 0x40f, v10
	s_wait_alu 0xfffd
	v_cndmask_b32_e32 v4, v11, v4, vcc_lo
	v_cmp_eq_u32_e32 vcc_lo, 0x40f, v12
	s_delay_alu instid0(VALU_DEP_2)
	v_and_or_b32 v4, 0x8000, v7, v4
	s_wait_alu 0xfffd
	v_cndmask_b32_e32 v6, v6, v8, vcc_lo
	v_add_co_u32 v2, vcc_lo, v2, s6
	s_wait_alu 0xfffd
	v_add_co_ci_u32_e32 v3, vcc_lo, s7, v3, vcc_lo
	s_delay_alu instid0(VALU_DEP_3) | instskip(SKIP_1) | instid1(VALU_DEP_1)
	v_and_or_b32 v6, 0x8000, v9, v6
	v_and_b32_e32 v4, 0xffff, v4
	v_lshl_or_b32 v4, v6, 16, v4
	v_lshrrev_b32_e32 v6, 16, v5
	global_store_b32 v[2:3], v4, off
	global_load_b32 v4, v59, s[12:13] offset:2880
	s_wait_loadcnt 0x0
	v_lshrrev_b32_e32 v7, 16, v4
	s_delay_alu instid0(VALU_DEP_1) | instskip(SKIP_1) | instid1(VALU_DEP_2)
	v_mul_f16_e32 v8, v6, v7
	v_mul_f16_e32 v7, v5, v7
	v_fmac_f16_e32 v8, v5, v4
	s_delay_alu instid0(VALU_DEP_2) | instskip(NEXT) | instid1(VALU_DEP_2)
	v_fma_f16 v4, v4, v6, -v7
	v_cvt_f32_f16_e32 v5, v8
	s_delay_alu instid0(VALU_DEP_2) | instskip(NEXT) | instid1(VALU_DEP_2)
	v_cvt_f32_f16_e32 v6, v4
	v_cvt_f64_f32_e32 v[4:5], v5
	s_delay_alu instid0(VALU_DEP_2) | instskip(NEXT) | instid1(VALU_DEP_2)
	v_cvt_f64_f32_e32 v[6:7], v6
	v_mul_f64_e32 v[4:5], s[8:9], v[4:5]
	s_delay_alu instid0(VALU_DEP_2) | instskip(NEXT) | instid1(VALU_DEP_2)
	v_mul_f64_e32 v[6:7], s[8:9], v[6:7]
	v_and_or_b32 v4, 0x1ff, v5, v4
	s_delay_alu instid0(VALU_DEP_2)
	v_and_or_b32 v6, 0x1ff, v7, v6
	v_lshrrev_b32_e32 v8, 8, v5
	v_bfe_u32 v9, v5, 20, 11
	v_lshrrev_b32_e32 v10, 8, v7
	v_cmp_ne_u32_e32 vcc_lo, 0, v4
	v_bfe_u32 v11, v7, 20, 11
	v_lshrrev_b32_e32 v5, 16, v5
	v_sub_nc_u32_e32 v12, 0x3f1, v9
	v_add_nc_u32_e32 v9, 0xfffffc10, v9
	s_wait_alu 0xfffd
	v_cndmask_b32_e64 v4, 0, 1, vcc_lo
	v_cmp_ne_u32_e32 vcc_lo, 0, v6
	v_lshrrev_b32_e32 v7, 16, v7
	s_delay_alu instid0(VALU_DEP_3) | instskip(SKIP_4) | instid1(VALU_DEP_3)
	v_and_or_b32 v4, 0xffe, v8, v4
	s_wait_alu 0xfffd
	v_cndmask_b32_e64 v6, 0, 1, vcc_lo
	v_sub_nc_u32_e32 v8, 0x3f1, v11
	v_add_nc_u32_e32 v11, 0xfffffc10, v11
	v_and_or_b32 v6, 0xffe, v10, v6
	v_med3_i32 v10, v12, 0, 13
	v_or_b32_e32 v12, 0x1000, v4
	v_med3_i32 v8, v8, 0, 13
	s_delay_alu instid0(VALU_DEP_4) | instskip(NEXT) | instid1(VALU_DEP_3)
	v_or_b32_e32 v13, 0x1000, v6
	v_lshrrev_b32_e32 v14, v10, v12
	s_delay_alu instid0(VALU_DEP_2) | instskip(NEXT) | instid1(VALU_DEP_2)
	v_lshrrev_b32_e32 v15, v8, v13
	v_lshlrev_b32_e32 v10, v10, v14
	s_delay_alu instid0(VALU_DEP_2) | instskip(NEXT) | instid1(VALU_DEP_2)
	v_lshlrev_b32_e32 v8, v8, v15
	v_cmp_ne_u32_e32 vcc_lo, v10, v12
	v_lshl_or_b32 v12, v9, 12, v4
	s_wait_alu 0xfffd
	v_cndmask_b32_e64 v10, 0, 1, vcc_lo
	v_cmp_ne_u32_e32 vcc_lo, v8, v13
	v_lshl_or_b32 v13, v11, 12, v6
	s_delay_alu instid0(VALU_DEP_3) | instskip(SKIP_3) | instid1(VALU_DEP_2)
	v_or_b32_e32 v10, v14, v10
	s_wait_alu 0xfffd
	v_cndmask_b32_e64 v8, 0, 1, vcc_lo
	v_cmp_gt_i32_e32 vcc_lo, 1, v9
	v_or_b32_e32 v8, v15, v8
	s_wait_alu 0xfffd
	v_cndmask_b32_e32 v10, v12, v10, vcc_lo
	v_cmp_gt_i32_e32 vcc_lo, 1, v11
	s_delay_alu instid0(VALU_DEP_2)
	v_and_b32_e32 v12, 7, v10
	s_wait_alu 0xfffd
	v_cndmask_b32_e32 v8, v13, v8, vcc_lo
	v_cmp_ne_u32_e32 vcc_lo, 0, v4
	v_lshrrev_b32_e32 v10, 2, v10
	v_cmp_eq_u32_e64 s0, 3, v12
	s_delay_alu instid0(VALU_DEP_4)
	v_and_b32_e32 v13, 7, v8
	s_wait_alu 0xfffd
	v_cndmask_b32_e64 v4, 0, 1, vcc_lo
	v_cmp_ne_u32_e32 vcc_lo, 0, v6
	v_lshrrev_b32_e32 v8, 2, v8
	v_cmp_lt_i32_e64 s1, 5, v13
	v_cmp_eq_u32_e64 s2, 3, v13
	s_wait_alu 0xfffd
	v_cndmask_b32_e64 v6, 0, 1, vcc_lo
	v_cmp_lt_i32_e32 vcc_lo, 5, v12
	v_lshl_or_b32 v4, v4, 9, 0x7c00
	s_delay_alu instid0(VALU_DEP_3)
	v_lshl_or_b32 v6, v6, 9, 0x7c00
	s_or_b32 vcc_lo, s0, vcc_lo
	s_wait_alu 0xfffe
	v_add_co_ci_u32_e32 v10, vcc_lo, 0, v10, vcc_lo
	s_or_b32 vcc_lo, s2, s1
	s_wait_alu 0xfffe
	v_add_co_ci_u32_e32 v8, vcc_lo, 0, v8, vcc_lo
	v_cmp_gt_i32_e32 vcc_lo, 31, v9
	s_wait_alu 0xfffd
	v_cndmask_b32_e32 v10, 0x7c00, v10, vcc_lo
	v_cmp_gt_i32_e32 vcc_lo, 31, v11
	s_wait_alu 0xfffd
	v_cndmask_b32_e32 v8, 0x7c00, v8, vcc_lo
	v_cmp_eq_u32_e32 vcc_lo, 0x40f, v9
	s_wait_alu 0xfffd
	v_cndmask_b32_e32 v4, v10, v4, vcc_lo
	v_cmp_eq_u32_e32 vcc_lo, 0x40f, v11
	s_delay_alu instid0(VALU_DEP_2)
	v_and_or_b32 v4, 0x8000, v5, v4
	s_wait_alu 0xfffd
	v_cndmask_b32_e32 v6, v8, v6, vcc_lo
	v_add_co_u32 v2, vcc_lo, v2, s6
	s_wait_alu 0xfffd
	v_add_co_ci_u32_e32 v3, vcc_lo, s7, v3, vcc_lo
	s_delay_alu instid0(VALU_DEP_3) | instskip(SKIP_1) | instid1(VALU_DEP_1)
	v_and_or_b32 v5, 0x8000, v7, v6
	v_and_b32_e32 v4, 0xffff, v4
	v_lshl_or_b32 v4, v5, 16, v4
	global_store_b32 v[2:3], v4, off
	global_load_b32 v6, v59, s[12:13] offset:3360
	v_add_nc_u32_e32 v4, 0xc00, v59
	ds_load_2addr_b32 v[4:5], v4 offset0:72 offset1:192
	s_wait_dscnt 0x0
	v_lshrrev_b32_e32 v7, 16, v4
	s_wait_loadcnt 0x0
	v_lshrrev_b32_e32 v8, 16, v6
	s_delay_alu instid0(VALU_DEP_1) | instskip(SKIP_1) | instid1(VALU_DEP_2)
	v_mul_f16_e32 v9, v7, v8
	v_mul_f16_e32 v8, v4, v8
	v_fmac_f16_e32 v9, v4, v6
	s_delay_alu instid0(VALU_DEP_2) | instskip(NEXT) | instid1(VALU_DEP_2)
	v_fma_f16 v4, v6, v7, -v8
	v_cvt_f32_f16_e32 v6, v9
	s_delay_alu instid0(VALU_DEP_2) | instskip(NEXT) | instid1(VALU_DEP_2)
	v_cvt_f32_f16_e32 v4, v4
	v_cvt_f64_f32_e32 v[6:7], v6
	s_delay_alu instid0(VALU_DEP_2) | instskip(NEXT) | instid1(VALU_DEP_2)
	v_cvt_f64_f32_e32 v[8:9], v4
	v_mul_f64_e32 v[6:7], s[8:9], v[6:7]
	s_delay_alu instid0(VALU_DEP_2) | instskip(NEXT) | instid1(VALU_DEP_2)
	v_mul_f64_e32 v[8:9], s[8:9], v[8:9]
	v_and_or_b32 v4, 0x1ff, v7, v6
	s_delay_alu instid0(VALU_DEP_2)
	v_and_or_b32 v8, 0x1ff, v9, v8
	v_lshrrev_b32_e32 v6, 8, v7
	v_bfe_u32 v10, v7, 20, 11
	v_lshrrev_b32_e32 v11, 8, v9
	v_cmp_ne_u32_e32 vcc_lo, 0, v4
	v_bfe_u32 v12, v9, 20, 11
	v_lshrrev_b32_e32 v7, 16, v7
	v_sub_nc_u32_e32 v13, 0x3f1, v10
	v_add_nc_u32_e32 v10, 0xfffffc10, v10
	s_wait_alu 0xfffd
	v_cndmask_b32_e64 v4, 0, 1, vcc_lo
	v_cmp_ne_u32_e32 vcc_lo, 0, v8
	v_lshrrev_b32_e32 v9, 16, v9
	s_delay_alu instid0(VALU_DEP_3) | instskip(SKIP_4) | instid1(VALU_DEP_3)
	v_and_or_b32 v4, 0xffe, v6, v4
	s_wait_alu 0xfffd
	v_cndmask_b32_e64 v8, 0, 1, vcc_lo
	v_sub_nc_u32_e32 v6, 0x3f1, v12
	v_add_nc_u32_e32 v12, 0xfffffc10, v12
	v_and_or_b32 v8, 0xffe, v11, v8
	v_med3_i32 v11, v13, 0, 13
	v_or_b32_e32 v13, 0x1000, v4
	v_med3_i32 v6, v6, 0, 13
	s_delay_alu instid0(VALU_DEP_4) | instskip(NEXT) | instid1(VALU_DEP_3)
	v_or_b32_e32 v14, 0x1000, v8
	v_lshrrev_b32_e32 v15, v11, v13
	s_delay_alu instid0(VALU_DEP_2) | instskip(NEXT) | instid1(VALU_DEP_2)
	v_lshrrev_b32_e32 v16, v6, v14
	v_lshlrev_b32_e32 v11, v11, v15
	s_delay_alu instid0(VALU_DEP_2) | instskip(NEXT) | instid1(VALU_DEP_2)
	v_lshlrev_b32_e32 v6, v6, v16
	v_cmp_ne_u32_e32 vcc_lo, v11, v13
	v_lshl_or_b32 v13, v10, 12, v4
	s_wait_alu 0xfffd
	v_cndmask_b32_e64 v11, 0, 1, vcc_lo
	v_cmp_ne_u32_e32 vcc_lo, v6, v14
	v_lshl_or_b32 v14, v12, 12, v8
	s_delay_alu instid0(VALU_DEP_3) | instskip(SKIP_3) | instid1(VALU_DEP_2)
	v_or_b32_e32 v11, v15, v11
	s_wait_alu 0xfffd
	v_cndmask_b32_e64 v6, 0, 1, vcc_lo
	v_cmp_gt_i32_e32 vcc_lo, 1, v10
	v_or_b32_e32 v6, v16, v6
	s_wait_alu 0xfffd
	v_cndmask_b32_e32 v11, v13, v11, vcc_lo
	v_cmp_gt_i32_e32 vcc_lo, 1, v12
	s_wait_alu 0xfffd
	s_delay_alu instid0(VALU_DEP_2) | instskip(SKIP_2) | instid1(VALU_DEP_3)
	v_dual_cndmask_b32 v6, v14, v6 :: v_dual_and_b32 v13, 7, v11
	v_cmp_ne_u32_e32 vcc_lo, 0, v4
	v_lshrrev_b32_e32 v11, 2, v11
	v_cmp_eq_u32_e64 s0, 3, v13
	s_delay_alu instid0(VALU_DEP_4)
	v_and_b32_e32 v14, 7, v6
	s_wait_alu 0xfffd
	v_cndmask_b32_e64 v4, 0, 1, vcc_lo
	v_cmp_ne_u32_e32 vcc_lo, 0, v8
	v_lshrrev_b32_e32 v6, 2, v6
	v_cmp_lt_i32_e64 s1, 5, v14
	v_cmp_eq_u32_e64 s2, 3, v14
	s_wait_alu 0xfffd
	v_cndmask_b32_e64 v8, 0, 1, vcc_lo
	v_cmp_lt_i32_e32 vcc_lo, 5, v13
	v_lshl_or_b32 v4, v4, 9, 0x7c00
	s_delay_alu instid0(VALU_DEP_3)
	v_lshl_or_b32 v8, v8, 9, 0x7c00
	s_or_b32 vcc_lo, s0, vcc_lo
	s_wait_alu 0xfffe
	v_add_co_ci_u32_e32 v11, vcc_lo, 0, v11, vcc_lo
	s_or_b32 vcc_lo, s2, s1
	s_wait_alu 0xfffe
	v_add_co_ci_u32_e32 v6, vcc_lo, 0, v6, vcc_lo
	v_cmp_gt_i32_e32 vcc_lo, 31, v10
	s_wait_alu 0xfffd
	v_cndmask_b32_e32 v11, 0x7c00, v11, vcc_lo
	v_cmp_gt_i32_e32 vcc_lo, 31, v12
	s_wait_alu 0xfffd
	v_cndmask_b32_e32 v6, 0x7c00, v6, vcc_lo
	v_cmp_eq_u32_e32 vcc_lo, 0x40f, v10
	s_wait_alu 0xfffd
	v_cndmask_b32_e32 v4, v11, v4, vcc_lo
	v_cmp_eq_u32_e32 vcc_lo, 0x40f, v12
	s_delay_alu instid0(VALU_DEP_2)
	v_and_or_b32 v4, 0x8000, v7, v4
	s_wait_alu 0xfffd
	v_cndmask_b32_e32 v6, v6, v8, vcc_lo
	v_add_co_u32 v2, vcc_lo, v2, s6
	s_wait_alu 0xfffd
	v_add_co_ci_u32_e32 v3, vcc_lo, s7, v3, vcc_lo
	s_delay_alu instid0(VALU_DEP_3) | instskip(SKIP_1) | instid1(VALU_DEP_1)
	v_and_or_b32 v6, 0x8000, v9, v6
	v_and_b32_e32 v4, 0xffff, v4
	v_lshl_or_b32 v4, v6, 16, v4
	v_lshrrev_b32_e32 v6, 16, v5
	global_store_b32 v[2:3], v4, off
	global_load_b32 v4, v59, s[12:13] offset:3840
	s_wait_loadcnt 0x0
	v_lshrrev_b32_e32 v7, 16, v4
	s_delay_alu instid0(VALU_DEP_1) | instskip(SKIP_1) | instid1(VALU_DEP_2)
	v_mul_f16_e32 v8, v6, v7
	v_mul_f16_e32 v7, v5, v7
	v_fmac_f16_e32 v8, v5, v4
	s_delay_alu instid0(VALU_DEP_2) | instskip(NEXT) | instid1(VALU_DEP_2)
	v_fma_f16 v4, v4, v6, -v7
	v_cvt_f32_f16_e32 v5, v8
	s_delay_alu instid0(VALU_DEP_2) | instskip(NEXT) | instid1(VALU_DEP_2)
	v_cvt_f32_f16_e32 v6, v4
	v_cvt_f64_f32_e32 v[4:5], v5
	s_delay_alu instid0(VALU_DEP_2) | instskip(NEXT) | instid1(VALU_DEP_2)
	v_cvt_f64_f32_e32 v[6:7], v6
	v_mul_f64_e32 v[4:5], s[8:9], v[4:5]
	s_delay_alu instid0(VALU_DEP_2) | instskip(NEXT) | instid1(VALU_DEP_2)
	v_mul_f64_e32 v[6:7], s[8:9], v[6:7]
	v_and_or_b32 v4, 0x1ff, v5, v4
	s_delay_alu instid0(VALU_DEP_2)
	v_and_or_b32 v6, 0x1ff, v7, v6
	v_lshrrev_b32_e32 v8, 8, v5
	v_bfe_u32 v9, v5, 20, 11
	v_lshrrev_b32_e32 v10, 8, v7
	v_cmp_ne_u32_e32 vcc_lo, 0, v4
	v_bfe_u32 v11, v7, 20, 11
	v_lshrrev_b32_e32 v5, 16, v5
	v_sub_nc_u32_e32 v12, 0x3f1, v9
	v_add_nc_u32_e32 v9, 0xfffffc10, v9
	s_wait_alu 0xfffd
	v_cndmask_b32_e64 v4, 0, 1, vcc_lo
	v_cmp_ne_u32_e32 vcc_lo, 0, v6
	v_lshrrev_b32_e32 v7, 16, v7
	s_delay_alu instid0(VALU_DEP_3) | instskip(SKIP_4) | instid1(VALU_DEP_3)
	v_and_or_b32 v4, 0xffe, v8, v4
	s_wait_alu 0xfffd
	v_cndmask_b32_e64 v6, 0, 1, vcc_lo
	v_sub_nc_u32_e32 v8, 0x3f1, v11
	v_add_nc_u32_e32 v11, 0xfffffc10, v11
	v_and_or_b32 v6, 0xffe, v10, v6
	v_med3_i32 v10, v12, 0, 13
	v_or_b32_e32 v12, 0x1000, v4
	v_med3_i32 v8, v8, 0, 13
	s_delay_alu instid0(VALU_DEP_4) | instskip(NEXT) | instid1(VALU_DEP_3)
	v_or_b32_e32 v13, 0x1000, v6
	v_lshrrev_b32_e32 v14, v10, v12
	s_delay_alu instid0(VALU_DEP_2) | instskip(NEXT) | instid1(VALU_DEP_2)
	v_lshrrev_b32_e32 v15, v8, v13
	v_lshlrev_b32_e32 v10, v10, v14
	s_delay_alu instid0(VALU_DEP_2) | instskip(NEXT) | instid1(VALU_DEP_2)
	v_lshlrev_b32_e32 v8, v8, v15
	v_cmp_ne_u32_e32 vcc_lo, v10, v12
	v_lshl_or_b32 v12, v9, 12, v4
	s_wait_alu 0xfffd
	v_cndmask_b32_e64 v10, 0, 1, vcc_lo
	v_cmp_ne_u32_e32 vcc_lo, v8, v13
	v_lshl_or_b32 v13, v11, 12, v6
	s_delay_alu instid0(VALU_DEP_3) | instskip(SKIP_3) | instid1(VALU_DEP_2)
	v_or_b32_e32 v10, v14, v10
	s_wait_alu 0xfffd
	v_cndmask_b32_e64 v8, 0, 1, vcc_lo
	v_cmp_gt_i32_e32 vcc_lo, 1, v9
	v_or_b32_e32 v8, v15, v8
	s_wait_alu 0xfffd
	v_cndmask_b32_e32 v10, v12, v10, vcc_lo
	v_cmp_gt_i32_e32 vcc_lo, 1, v11
	s_delay_alu instid0(VALU_DEP_2)
	v_and_b32_e32 v12, 7, v10
	s_wait_alu 0xfffd
	v_cndmask_b32_e32 v8, v13, v8, vcc_lo
	v_cmp_ne_u32_e32 vcc_lo, 0, v4
	v_lshrrev_b32_e32 v10, 2, v10
	v_cmp_eq_u32_e64 s0, 3, v12
	s_delay_alu instid0(VALU_DEP_4)
	v_and_b32_e32 v13, 7, v8
	s_wait_alu 0xfffd
	v_cndmask_b32_e64 v4, 0, 1, vcc_lo
	v_cmp_ne_u32_e32 vcc_lo, 0, v6
	v_lshrrev_b32_e32 v8, 2, v8
	v_cmp_lt_i32_e64 s1, 5, v13
	v_cmp_eq_u32_e64 s2, 3, v13
	s_wait_alu 0xfffd
	v_cndmask_b32_e64 v6, 0, 1, vcc_lo
	v_cmp_lt_i32_e32 vcc_lo, 5, v12
	v_lshl_or_b32 v4, v4, 9, 0x7c00
	s_delay_alu instid0(VALU_DEP_3)
	v_lshl_or_b32 v6, v6, 9, 0x7c00
	s_or_b32 vcc_lo, s0, vcc_lo
	s_wait_alu 0xfffe
	v_add_co_ci_u32_e32 v10, vcc_lo, 0, v10, vcc_lo
	s_or_b32 vcc_lo, s2, s1
	s_wait_alu 0xfffe
	v_add_co_ci_u32_e32 v8, vcc_lo, 0, v8, vcc_lo
	v_cmp_gt_i32_e32 vcc_lo, 31, v9
	s_wait_alu 0xfffd
	v_cndmask_b32_e32 v10, 0x7c00, v10, vcc_lo
	v_cmp_gt_i32_e32 vcc_lo, 31, v11
	s_wait_alu 0xfffd
	v_cndmask_b32_e32 v8, 0x7c00, v8, vcc_lo
	v_cmp_eq_u32_e32 vcc_lo, 0x40f, v9
	s_wait_alu 0xfffd
	v_cndmask_b32_e32 v4, v10, v4, vcc_lo
	v_cmp_eq_u32_e32 vcc_lo, 0x40f, v11
	s_delay_alu instid0(VALU_DEP_2)
	v_and_or_b32 v4, 0x8000, v5, v4
	s_wait_alu 0xfffd
	v_cndmask_b32_e32 v6, v8, v6, vcc_lo
	v_add_co_u32 v2, vcc_lo, v2, s6
	s_wait_alu 0xfffd
	v_add_co_ci_u32_e32 v3, vcc_lo, s7, v3, vcc_lo
	s_delay_alu instid0(VALU_DEP_3) | instskip(SKIP_1) | instid1(VALU_DEP_1)
	v_and_or_b32 v5, 0x8000, v7, v6
	v_and_b32_e32 v4, 0xffff, v4
	v_lshl_or_b32 v4, v5, 16, v4
	global_store_b32 v[2:3], v4, off
	global_load_b32 v6, v59, s[12:13] offset:4320
	v_add_nc_u32_e32 v4, 0x1000, v59
	ds_load_2addr_b32 v[4:5], v4 offset0:56 offset1:176
	s_wait_dscnt 0x0
	v_lshrrev_b32_e32 v7, 16, v4
	s_wait_loadcnt 0x0
	v_lshrrev_b32_e32 v8, 16, v6
	s_delay_alu instid0(VALU_DEP_1) | instskip(SKIP_1) | instid1(VALU_DEP_2)
	v_mul_f16_e32 v9, v7, v8
	v_mul_f16_e32 v8, v4, v8
	v_fmac_f16_e32 v9, v4, v6
	s_delay_alu instid0(VALU_DEP_2) | instskip(NEXT) | instid1(VALU_DEP_2)
	v_fma_f16 v4, v6, v7, -v8
	v_cvt_f32_f16_e32 v6, v9
	s_delay_alu instid0(VALU_DEP_2) | instskip(NEXT) | instid1(VALU_DEP_2)
	v_cvt_f32_f16_e32 v4, v4
	v_cvt_f64_f32_e32 v[6:7], v6
	s_delay_alu instid0(VALU_DEP_2) | instskip(NEXT) | instid1(VALU_DEP_2)
	v_cvt_f64_f32_e32 v[8:9], v4
	v_mul_f64_e32 v[6:7], s[8:9], v[6:7]
	s_delay_alu instid0(VALU_DEP_2) | instskip(NEXT) | instid1(VALU_DEP_2)
	v_mul_f64_e32 v[8:9], s[8:9], v[8:9]
	v_and_or_b32 v4, 0x1ff, v7, v6
	s_delay_alu instid0(VALU_DEP_2)
	v_and_or_b32 v8, 0x1ff, v9, v8
	v_lshrrev_b32_e32 v6, 8, v7
	v_bfe_u32 v10, v7, 20, 11
	v_lshrrev_b32_e32 v11, 8, v9
	v_cmp_ne_u32_e32 vcc_lo, 0, v4
	v_bfe_u32 v12, v9, 20, 11
	v_lshrrev_b32_e32 v7, 16, v7
	v_sub_nc_u32_e32 v13, 0x3f1, v10
	v_add_nc_u32_e32 v10, 0xfffffc10, v10
	s_wait_alu 0xfffd
	v_cndmask_b32_e64 v4, 0, 1, vcc_lo
	v_cmp_ne_u32_e32 vcc_lo, 0, v8
	v_lshrrev_b32_e32 v9, 16, v9
	s_delay_alu instid0(VALU_DEP_3) | instskip(SKIP_4) | instid1(VALU_DEP_3)
	v_and_or_b32 v4, 0xffe, v6, v4
	s_wait_alu 0xfffd
	v_cndmask_b32_e64 v8, 0, 1, vcc_lo
	v_sub_nc_u32_e32 v6, 0x3f1, v12
	v_add_nc_u32_e32 v12, 0xfffffc10, v12
	v_and_or_b32 v8, 0xffe, v11, v8
	v_med3_i32 v11, v13, 0, 13
	v_or_b32_e32 v13, 0x1000, v4
	v_med3_i32 v6, v6, 0, 13
	s_delay_alu instid0(VALU_DEP_4) | instskip(NEXT) | instid1(VALU_DEP_3)
	v_or_b32_e32 v14, 0x1000, v8
	v_lshrrev_b32_e32 v15, v11, v13
	s_delay_alu instid0(VALU_DEP_2) | instskip(NEXT) | instid1(VALU_DEP_2)
	v_lshrrev_b32_e32 v16, v6, v14
	v_lshlrev_b32_e32 v11, v11, v15
	s_delay_alu instid0(VALU_DEP_2) | instskip(NEXT) | instid1(VALU_DEP_2)
	v_lshlrev_b32_e32 v6, v6, v16
	v_cmp_ne_u32_e32 vcc_lo, v11, v13
	v_lshl_or_b32 v13, v10, 12, v4
	s_wait_alu 0xfffd
	v_cndmask_b32_e64 v11, 0, 1, vcc_lo
	v_cmp_ne_u32_e32 vcc_lo, v6, v14
	v_lshl_or_b32 v14, v12, 12, v8
	s_delay_alu instid0(VALU_DEP_3) | instskip(SKIP_3) | instid1(VALU_DEP_2)
	v_or_b32_e32 v11, v15, v11
	s_wait_alu 0xfffd
	v_cndmask_b32_e64 v6, 0, 1, vcc_lo
	v_cmp_gt_i32_e32 vcc_lo, 1, v10
	v_or_b32_e32 v6, v16, v6
	s_wait_alu 0xfffd
	v_cndmask_b32_e32 v11, v13, v11, vcc_lo
	v_cmp_gt_i32_e32 vcc_lo, 1, v12
	s_wait_alu 0xfffd
	s_delay_alu instid0(VALU_DEP_2) | instskip(SKIP_2) | instid1(VALU_DEP_3)
	v_dual_cndmask_b32 v6, v14, v6 :: v_dual_and_b32 v13, 7, v11
	v_cmp_ne_u32_e32 vcc_lo, 0, v4
	v_lshrrev_b32_e32 v11, 2, v11
	v_cmp_eq_u32_e64 s0, 3, v13
	s_delay_alu instid0(VALU_DEP_4)
	v_and_b32_e32 v14, 7, v6
	s_wait_alu 0xfffd
	v_cndmask_b32_e64 v4, 0, 1, vcc_lo
	v_cmp_ne_u32_e32 vcc_lo, 0, v8
	v_lshrrev_b32_e32 v6, 2, v6
	v_cmp_lt_i32_e64 s1, 5, v14
	v_cmp_eq_u32_e64 s2, 3, v14
	s_wait_alu 0xfffd
	v_cndmask_b32_e64 v8, 0, 1, vcc_lo
	v_cmp_lt_i32_e32 vcc_lo, 5, v13
	v_lshl_or_b32 v4, v4, 9, 0x7c00
	s_delay_alu instid0(VALU_DEP_3)
	v_lshl_or_b32 v8, v8, 9, 0x7c00
	s_or_b32 vcc_lo, s0, vcc_lo
	s_wait_alu 0xfffe
	v_add_co_ci_u32_e32 v11, vcc_lo, 0, v11, vcc_lo
	s_or_b32 vcc_lo, s2, s1
	s_wait_alu 0xfffe
	v_add_co_ci_u32_e32 v6, vcc_lo, 0, v6, vcc_lo
	v_cmp_gt_i32_e32 vcc_lo, 31, v10
	s_wait_alu 0xfffd
	v_cndmask_b32_e32 v11, 0x7c00, v11, vcc_lo
	v_cmp_gt_i32_e32 vcc_lo, 31, v12
	s_wait_alu 0xfffd
	v_cndmask_b32_e32 v6, 0x7c00, v6, vcc_lo
	v_cmp_eq_u32_e32 vcc_lo, 0x40f, v10
	s_wait_alu 0xfffd
	v_cndmask_b32_e32 v4, v11, v4, vcc_lo
	v_cmp_eq_u32_e32 vcc_lo, 0x40f, v12
	s_delay_alu instid0(VALU_DEP_2)
	v_and_or_b32 v4, 0x8000, v7, v4
	s_wait_alu 0xfffd
	v_cndmask_b32_e32 v6, v6, v8, vcc_lo
	v_add_co_u32 v2, vcc_lo, v2, s6
	s_wait_alu 0xfffd
	v_add_co_ci_u32_e32 v3, vcc_lo, s7, v3, vcc_lo
	s_delay_alu instid0(VALU_DEP_3) | instskip(SKIP_1) | instid1(VALU_DEP_1)
	v_and_or_b32 v6, 0x8000, v9, v6
	v_and_b32_e32 v4, 0xffff, v4
	v_lshl_or_b32 v4, v6, 16, v4
	v_lshrrev_b32_e32 v6, 16, v5
	global_store_b32 v[2:3], v4, off
	global_load_b32 v4, v59, s[12:13] offset:4800
	s_wait_loadcnt 0x0
	v_lshrrev_b32_e32 v7, 16, v4
	s_delay_alu instid0(VALU_DEP_1) | instskip(SKIP_1) | instid1(VALU_DEP_2)
	v_mul_f16_e32 v8, v6, v7
	v_mul_f16_e32 v7, v5, v7
	v_fmac_f16_e32 v8, v5, v4
	s_delay_alu instid0(VALU_DEP_2) | instskip(NEXT) | instid1(VALU_DEP_2)
	v_fma_f16 v4, v4, v6, -v7
	v_cvt_f32_f16_e32 v5, v8
	s_delay_alu instid0(VALU_DEP_2) | instskip(NEXT) | instid1(VALU_DEP_2)
	v_cvt_f32_f16_e32 v6, v4
	v_cvt_f64_f32_e32 v[4:5], v5
	s_delay_alu instid0(VALU_DEP_2) | instskip(NEXT) | instid1(VALU_DEP_2)
	v_cvt_f64_f32_e32 v[6:7], v6
	v_mul_f64_e32 v[4:5], s[8:9], v[4:5]
	s_delay_alu instid0(VALU_DEP_2) | instskip(NEXT) | instid1(VALU_DEP_2)
	v_mul_f64_e32 v[6:7], s[8:9], v[6:7]
	v_and_or_b32 v4, 0x1ff, v5, v4
	s_delay_alu instid0(VALU_DEP_2)
	v_and_or_b32 v6, 0x1ff, v7, v6
	v_lshrrev_b32_e32 v8, 8, v5
	v_bfe_u32 v9, v5, 20, 11
	v_lshrrev_b32_e32 v10, 8, v7
	v_cmp_ne_u32_e32 vcc_lo, 0, v4
	v_bfe_u32 v11, v7, 20, 11
	v_lshrrev_b32_e32 v5, 16, v5
	v_sub_nc_u32_e32 v12, 0x3f1, v9
	v_add_nc_u32_e32 v9, 0xfffffc10, v9
	s_wait_alu 0xfffd
	v_cndmask_b32_e64 v4, 0, 1, vcc_lo
	v_cmp_ne_u32_e32 vcc_lo, 0, v6
	v_lshrrev_b32_e32 v7, 16, v7
	s_delay_alu instid0(VALU_DEP_3) | instskip(SKIP_4) | instid1(VALU_DEP_3)
	v_and_or_b32 v4, 0xffe, v8, v4
	s_wait_alu 0xfffd
	v_cndmask_b32_e64 v6, 0, 1, vcc_lo
	v_sub_nc_u32_e32 v8, 0x3f1, v11
	v_add_nc_u32_e32 v11, 0xfffffc10, v11
	v_and_or_b32 v6, 0xffe, v10, v6
	v_med3_i32 v10, v12, 0, 13
	v_or_b32_e32 v12, 0x1000, v4
	v_med3_i32 v8, v8, 0, 13
	s_delay_alu instid0(VALU_DEP_4) | instskip(NEXT) | instid1(VALU_DEP_3)
	v_or_b32_e32 v13, 0x1000, v6
	v_lshrrev_b32_e32 v14, v10, v12
	s_delay_alu instid0(VALU_DEP_2) | instskip(NEXT) | instid1(VALU_DEP_2)
	v_lshrrev_b32_e32 v15, v8, v13
	v_lshlrev_b32_e32 v10, v10, v14
	s_delay_alu instid0(VALU_DEP_2) | instskip(NEXT) | instid1(VALU_DEP_2)
	v_lshlrev_b32_e32 v8, v8, v15
	v_cmp_ne_u32_e32 vcc_lo, v10, v12
	v_lshl_or_b32 v12, v9, 12, v4
	s_wait_alu 0xfffd
	v_cndmask_b32_e64 v10, 0, 1, vcc_lo
	v_cmp_ne_u32_e32 vcc_lo, v8, v13
	v_lshl_or_b32 v13, v11, 12, v6
	s_delay_alu instid0(VALU_DEP_3) | instskip(SKIP_3) | instid1(VALU_DEP_2)
	v_or_b32_e32 v10, v14, v10
	s_wait_alu 0xfffd
	v_cndmask_b32_e64 v8, 0, 1, vcc_lo
	v_cmp_gt_i32_e32 vcc_lo, 1, v9
	v_or_b32_e32 v8, v15, v8
	s_wait_alu 0xfffd
	v_cndmask_b32_e32 v10, v12, v10, vcc_lo
	v_cmp_gt_i32_e32 vcc_lo, 1, v11
	s_delay_alu instid0(VALU_DEP_2)
	v_and_b32_e32 v12, 7, v10
	s_wait_alu 0xfffd
	v_cndmask_b32_e32 v8, v13, v8, vcc_lo
	v_cmp_ne_u32_e32 vcc_lo, 0, v4
	v_lshrrev_b32_e32 v10, 2, v10
	v_cmp_eq_u32_e64 s0, 3, v12
	s_delay_alu instid0(VALU_DEP_4)
	v_and_b32_e32 v13, 7, v8
	s_wait_alu 0xfffd
	v_cndmask_b32_e64 v4, 0, 1, vcc_lo
	v_cmp_ne_u32_e32 vcc_lo, 0, v6
	v_lshrrev_b32_e32 v8, 2, v8
	v_cmp_lt_i32_e64 s1, 5, v13
	v_cmp_eq_u32_e64 s2, 3, v13
	s_wait_alu 0xfffd
	v_cndmask_b32_e64 v6, 0, 1, vcc_lo
	v_cmp_lt_i32_e32 vcc_lo, 5, v12
	v_lshl_or_b32 v4, v4, 9, 0x7c00
	s_delay_alu instid0(VALU_DEP_3)
	v_lshl_or_b32 v6, v6, 9, 0x7c00
	s_or_b32 vcc_lo, s0, vcc_lo
	s_wait_alu 0xfffe
	v_add_co_ci_u32_e32 v10, vcc_lo, 0, v10, vcc_lo
	s_or_b32 vcc_lo, s2, s1
	s_wait_alu 0xfffe
	v_add_co_ci_u32_e32 v8, vcc_lo, 0, v8, vcc_lo
	v_cmp_gt_i32_e32 vcc_lo, 31, v9
	s_wait_alu 0xfffd
	v_cndmask_b32_e32 v10, 0x7c00, v10, vcc_lo
	v_cmp_gt_i32_e32 vcc_lo, 31, v11
	s_wait_alu 0xfffd
	v_cndmask_b32_e32 v8, 0x7c00, v8, vcc_lo
	v_cmp_eq_u32_e32 vcc_lo, 0x40f, v9
	s_wait_alu 0xfffd
	v_cndmask_b32_e32 v4, v10, v4, vcc_lo
	v_cmp_eq_u32_e32 vcc_lo, 0x40f, v11
	s_delay_alu instid0(VALU_DEP_2)
	v_and_or_b32 v4, 0x8000, v5, v4
	s_wait_alu 0xfffd
	v_cndmask_b32_e32 v6, v8, v6, vcc_lo
	v_add_co_u32 v2, vcc_lo, v2, s6
	s_wait_alu 0xfffd
	v_add_co_ci_u32_e32 v3, vcc_lo, s7, v3, vcc_lo
	s_delay_alu instid0(VALU_DEP_3) | instskip(SKIP_1) | instid1(VALU_DEP_1)
	v_and_or_b32 v5, 0x8000, v7, v6
	v_and_b32_e32 v4, 0xffff, v4
	v_lshl_or_b32 v4, v5, 16, v4
	global_store_b32 v[2:3], v4, off
	global_load_b32 v6, v59, s[12:13] offset:5280
	v_add_nc_u32_e32 v4, 0x1400, v59
	ds_load_2addr_b32 v[4:5], v4 offset0:40 offset1:160
	s_wait_dscnt 0x0
	v_lshrrev_b32_e32 v7, 16, v4
	s_wait_loadcnt 0x0
	v_lshrrev_b32_e32 v8, 16, v6
	s_delay_alu instid0(VALU_DEP_1) | instskip(SKIP_1) | instid1(VALU_DEP_2)
	v_mul_f16_e32 v9, v7, v8
	v_mul_f16_e32 v8, v4, v8
	v_fmac_f16_e32 v9, v4, v6
	s_delay_alu instid0(VALU_DEP_2) | instskip(NEXT) | instid1(VALU_DEP_2)
	v_fma_f16 v4, v6, v7, -v8
	v_cvt_f32_f16_e32 v6, v9
	s_delay_alu instid0(VALU_DEP_2) | instskip(NEXT) | instid1(VALU_DEP_2)
	v_cvt_f32_f16_e32 v4, v4
	v_cvt_f64_f32_e32 v[6:7], v6
	s_delay_alu instid0(VALU_DEP_2) | instskip(NEXT) | instid1(VALU_DEP_2)
	v_cvt_f64_f32_e32 v[8:9], v4
	v_mul_f64_e32 v[6:7], s[8:9], v[6:7]
	s_delay_alu instid0(VALU_DEP_2) | instskip(NEXT) | instid1(VALU_DEP_2)
	v_mul_f64_e32 v[8:9], s[8:9], v[8:9]
	v_and_or_b32 v4, 0x1ff, v7, v6
	s_delay_alu instid0(VALU_DEP_2)
	v_and_or_b32 v8, 0x1ff, v9, v8
	v_lshrrev_b32_e32 v6, 8, v7
	v_bfe_u32 v10, v7, 20, 11
	v_lshrrev_b32_e32 v11, 8, v9
	v_cmp_ne_u32_e32 vcc_lo, 0, v4
	v_bfe_u32 v12, v9, 20, 11
	v_lshrrev_b32_e32 v7, 16, v7
	v_sub_nc_u32_e32 v13, 0x3f1, v10
	v_add_nc_u32_e32 v10, 0xfffffc10, v10
	s_wait_alu 0xfffd
	v_cndmask_b32_e64 v4, 0, 1, vcc_lo
	v_cmp_ne_u32_e32 vcc_lo, 0, v8
	v_lshrrev_b32_e32 v9, 16, v9
	s_delay_alu instid0(VALU_DEP_3) | instskip(SKIP_4) | instid1(VALU_DEP_3)
	v_and_or_b32 v4, 0xffe, v6, v4
	s_wait_alu 0xfffd
	v_cndmask_b32_e64 v8, 0, 1, vcc_lo
	v_sub_nc_u32_e32 v6, 0x3f1, v12
	v_add_nc_u32_e32 v12, 0xfffffc10, v12
	v_and_or_b32 v8, 0xffe, v11, v8
	v_med3_i32 v11, v13, 0, 13
	v_or_b32_e32 v13, 0x1000, v4
	v_med3_i32 v6, v6, 0, 13
	s_delay_alu instid0(VALU_DEP_4) | instskip(NEXT) | instid1(VALU_DEP_3)
	v_or_b32_e32 v14, 0x1000, v8
	v_lshrrev_b32_e32 v15, v11, v13
	s_delay_alu instid0(VALU_DEP_2) | instskip(NEXT) | instid1(VALU_DEP_2)
	v_lshrrev_b32_e32 v16, v6, v14
	v_lshlrev_b32_e32 v11, v11, v15
	s_delay_alu instid0(VALU_DEP_2) | instskip(NEXT) | instid1(VALU_DEP_2)
	v_lshlrev_b32_e32 v6, v6, v16
	v_cmp_ne_u32_e32 vcc_lo, v11, v13
	v_lshl_or_b32 v13, v10, 12, v4
	s_wait_alu 0xfffd
	v_cndmask_b32_e64 v11, 0, 1, vcc_lo
	v_cmp_ne_u32_e32 vcc_lo, v6, v14
	v_lshl_or_b32 v14, v12, 12, v8
	s_delay_alu instid0(VALU_DEP_3) | instskip(SKIP_3) | instid1(VALU_DEP_2)
	v_or_b32_e32 v11, v15, v11
	s_wait_alu 0xfffd
	v_cndmask_b32_e64 v6, 0, 1, vcc_lo
	v_cmp_gt_i32_e32 vcc_lo, 1, v10
	v_or_b32_e32 v6, v16, v6
	s_wait_alu 0xfffd
	v_cndmask_b32_e32 v11, v13, v11, vcc_lo
	v_cmp_gt_i32_e32 vcc_lo, 1, v12
	s_wait_alu 0xfffd
	s_delay_alu instid0(VALU_DEP_2) | instskip(SKIP_2) | instid1(VALU_DEP_3)
	v_dual_cndmask_b32 v6, v14, v6 :: v_dual_and_b32 v13, 7, v11
	v_cmp_ne_u32_e32 vcc_lo, 0, v4
	v_lshrrev_b32_e32 v11, 2, v11
	v_cmp_eq_u32_e64 s0, 3, v13
	s_delay_alu instid0(VALU_DEP_4)
	v_and_b32_e32 v14, 7, v6
	s_wait_alu 0xfffd
	v_cndmask_b32_e64 v4, 0, 1, vcc_lo
	v_cmp_ne_u32_e32 vcc_lo, 0, v8
	v_lshrrev_b32_e32 v6, 2, v6
	v_cmp_lt_i32_e64 s1, 5, v14
	v_cmp_eq_u32_e64 s2, 3, v14
	s_wait_alu 0xfffd
	v_cndmask_b32_e64 v8, 0, 1, vcc_lo
	v_cmp_lt_i32_e32 vcc_lo, 5, v13
	v_lshl_or_b32 v4, v4, 9, 0x7c00
	s_delay_alu instid0(VALU_DEP_3)
	v_lshl_or_b32 v8, v8, 9, 0x7c00
	s_or_b32 vcc_lo, s0, vcc_lo
	s_wait_alu 0xfffe
	v_add_co_ci_u32_e32 v11, vcc_lo, 0, v11, vcc_lo
	s_or_b32 vcc_lo, s2, s1
	s_wait_alu 0xfffe
	v_add_co_ci_u32_e32 v6, vcc_lo, 0, v6, vcc_lo
	v_cmp_gt_i32_e32 vcc_lo, 31, v10
	s_wait_alu 0xfffd
	v_cndmask_b32_e32 v11, 0x7c00, v11, vcc_lo
	v_cmp_gt_i32_e32 vcc_lo, 31, v12
	s_wait_alu 0xfffd
	v_cndmask_b32_e32 v6, 0x7c00, v6, vcc_lo
	v_cmp_eq_u32_e32 vcc_lo, 0x40f, v10
	s_wait_alu 0xfffd
	v_cndmask_b32_e32 v4, v11, v4, vcc_lo
	v_cmp_eq_u32_e32 vcc_lo, 0x40f, v12
	s_delay_alu instid0(VALU_DEP_2)
	v_and_or_b32 v4, 0x8000, v7, v4
	s_wait_alu 0xfffd
	v_cndmask_b32_e32 v6, v6, v8, vcc_lo
	v_add_co_u32 v2, vcc_lo, v2, s6
	s_wait_alu 0xfffd
	v_add_co_ci_u32_e32 v3, vcc_lo, s7, v3, vcc_lo
	s_delay_alu instid0(VALU_DEP_3) | instskip(SKIP_1) | instid1(VALU_DEP_1)
	v_and_or_b32 v6, 0x8000, v9, v6
	v_and_b32_e32 v4, 0xffff, v4
	v_lshl_or_b32 v4, v6, 16, v4
	v_lshrrev_b32_e32 v6, 16, v5
	global_store_b32 v[2:3], v4, off
	global_load_b32 v4, v59, s[12:13] offset:5760
	s_wait_loadcnt 0x0
	v_lshrrev_b32_e32 v7, 16, v4
	s_delay_alu instid0(VALU_DEP_1) | instskip(SKIP_1) | instid1(VALU_DEP_2)
	v_mul_f16_e32 v8, v6, v7
	v_mul_f16_e32 v7, v5, v7
	v_fmac_f16_e32 v8, v5, v4
	s_delay_alu instid0(VALU_DEP_2) | instskip(NEXT) | instid1(VALU_DEP_2)
	v_fma_f16 v4, v4, v6, -v7
	v_cvt_f32_f16_e32 v5, v8
	s_delay_alu instid0(VALU_DEP_2) | instskip(NEXT) | instid1(VALU_DEP_2)
	v_cvt_f32_f16_e32 v6, v4
	v_cvt_f64_f32_e32 v[4:5], v5
	s_delay_alu instid0(VALU_DEP_2) | instskip(NEXT) | instid1(VALU_DEP_2)
	v_cvt_f64_f32_e32 v[6:7], v6
	v_mul_f64_e32 v[4:5], s[8:9], v[4:5]
	s_delay_alu instid0(VALU_DEP_2) | instskip(NEXT) | instid1(VALU_DEP_2)
	v_mul_f64_e32 v[6:7], s[8:9], v[6:7]
	v_and_or_b32 v4, 0x1ff, v5, v4
	s_delay_alu instid0(VALU_DEP_2)
	v_and_or_b32 v6, 0x1ff, v7, v6
	v_lshrrev_b32_e32 v8, 8, v5
	v_bfe_u32 v9, v5, 20, 11
	v_lshrrev_b32_e32 v10, 8, v7
	v_cmp_ne_u32_e32 vcc_lo, 0, v4
	v_bfe_u32 v11, v7, 20, 11
	v_lshrrev_b32_e32 v5, 16, v5
	v_sub_nc_u32_e32 v12, 0x3f1, v9
	v_add_nc_u32_e32 v9, 0xfffffc10, v9
	s_wait_alu 0xfffd
	v_cndmask_b32_e64 v4, 0, 1, vcc_lo
	v_cmp_ne_u32_e32 vcc_lo, 0, v6
	v_lshrrev_b32_e32 v7, 16, v7
	s_delay_alu instid0(VALU_DEP_3) | instskip(SKIP_4) | instid1(VALU_DEP_3)
	v_and_or_b32 v4, 0xffe, v8, v4
	s_wait_alu 0xfffd
	v_cndmask_b32_e64 v6, 0, 1, vcc_lo
	v_sub_nc_u32_e32 v8, 0x3f1, v11
	v_add_nc_u32_e32 v11, 0xfffffc10, v11
	v_and_or_b32 v6, 0xffe, v10, v6
	v_med3_i32 v10, v12, 0, 13
	v_or_b32_e32 v12, 0x1000, v4
	v_med3_i32 v8, v8, 0, 13
	s_delay_alu instid0(VALU_DEP_4) | instskip(NEXT) | instid1(VALU_DEP_3)
	v_or_b32_e32 v13, 0x1000, v6
	v_lshrrev_b32_e32 v14, v10, v12
	s_delay_alu instid0(VALU_DEP_2) | instskip(NEXT) | instid1(VALU_DEP_2)
	v_lshrrev_b32_e32 v15, v8, v13
	v_lshlrev_b32_e32 v10, v10, v14
	s_delay_alu instid0(VALU_DEP_2) | instskip(NEXT) | instid1(VALU_DEP_2)
	v_lshlrev_b32_e32 v8, v8, v15
	v_cmp_ne_u32_e32 vcc_lo, v10, v12
	v_lshl_or_b32 v12, v9, 12, v4
	s_wait_alu 0xfffd
	v_cndmask_b32_e64 v10, 0, 1, vcc_lo
	v_cmp_ne_u32_e32 vcc_lo, v8, v13
	v_lshl_or_b32 v13, v11, 12, v6
	s_delay_alu instid0(VALU_DEP_3) | instskip(SKIP_3) | instid1(VALU_DEP_2)
	v_or_b32_e32 v10, v14, v10
	s_wait_alu 0xfffd
	v_cndmask_b32_e64 v8, 0, 1, vcc_lo
	v_cmp_gt_i32_e32 vcc_lo, 1, v9
	v_or_b32_e32 v8, v15, v8
	s_wait_alu 0xfffd
	v_cndmask_b32_e32 v10, v12, v10, vcc_lo
	v_cmp_gt_i32_e32 vcc_lo, 1, v11
	s_delay_alu instid0(VALU_DEP_2)
	v_and_b32_e32 v12, 7, v10
	s_wait_alu 0xfffd
	v_cndmask_b32_e32 v8, v13, v8, vcc_lo
	v_cmp_ne_u32_e32 vcc_lo, 0, v4
	v_lshrrev_b32_e32 v10, 2, v10
	v_cmp_eq_u32_e64 s0, 3, v12
	s_delay_alu instid0(VALU_DEP_4)
	v_and_b32_e32 v13, 7, v8
	s_wait_alu 0xfffd
	v_cndmask_b32_e64 v4, 0, 1, vcc_lo
	v_cmp_ne_u32_e32 vcc_lo, 0, v6
	v_lshrrev_b32_e32 v8, 2, v8
	v_cmp_lt_i32_e64 s1, 5, v13
	v_cmp_eq_u32_e64 s2, 3, v13
	s_wait_alu 0xfffd
	v_cndmask_b32_e64 v6, 0, 1, vcc_lo
	v_cmp_lt_i32_e32 vcc_lo, 5, v12
	v_lshl_or_b32 v4, v4, 9, 0x7c00
	s_delay_alu instid0(VALU_DEP_3)
	v_lshl_or_b32 v6, v6, 9, 0x7c00
	s_or_b32 vcc_lo, s0, vcc_lo
	s_wait_alu 0xfffe
	v_add_co_ci_u32_e32 v10, vcc_lo, 0, v10, vcc_lo
	s_or_b32 vcc_lo, s2, s1
	s_wait_alu 0xfffe
	v_add_co_ci_u32_e32 v8, vcc_lo, 0, v8, vcc_lo
	v_cmp_gt_i32_e32 vcc_lo, 31, v9
	s_wait_alu 0xfffd
	v_cndmask_b32_e32 v10, 0x7c00, v10, vcc_lo
	v_cmp_gt_i32_e32 vcc_lo, 31, v11
	s_wait_alu 0xfffd
	v_cndmask_b32_e32 v8, 0x7c00, v8, vcc_lo
	v_cmp_eq_u32_e32 vcc_lo, 0x40f, v9
	s_wait_alu 0xfffd
	v_cndmask_b32_e32 v4, v10, v4, vcc_lo
	v_cmp_eq_u32_e32 vcc_lo, 0x40f, v11
	s_delay_alu instid0(VALU_DEP_2)
	v_and_or_b32 v4, 0x8000, v5, v4
	s_wait_alu 0xfffd
	v_cndmask_b32_e32 v6, v8, v6, vcc_lo
	v_add_co_u32 v2, vcc_lo, v2, s6
	s_wait_alu 0xfffd
	v_add_co_ci_u32_e32 v3, vcc_lo, s7, v3, vcc_lo
	s_delay_alu instid0(VALU_DEP_3) | instskip(SKIP_1) | instid1(VALU_DEP_1)
	v_and_or_b32 v5, 0x8000, v7, v6
	v_and_b32_e32 v4, 0xffff, v4
	v_lshl_or_b32 v4, v5, 16, v4
	global_store_b32 v[2:3], v4, off
	global_load_b32 v6, v59, s[12:13] offset:6240
	v_add_nc_u32_e32 v4, 0x1800, v59
	ds_load_2addr_b32 v[4:5], v4 offset0:24 offset1:144
	s_wait_dscnt 0x0
	v_lshrrev_b32_e32 v7, 16, v4
	s_wait_loadcnt 0x0
	v_lshrrev_b32_e32 v8, 16, v6
	s_delay_alu instid0(VALU_DEP_1) | instskip(SKIP_1) | instid1(VALU_DEP_2)
	v_mul_f16_e32 v9, v7, v8
	v_mul_f16_e32 v8, v4, v8
	v_fmac_f16_e32 v9, v4, v6
	s_delay_alu instid0(VALU_DEP_2) | instskip(NEXT) | instid1(VALU_DEP_2)
	v_fma_f16 v4, v6, v7, -v8
	v_cvt_f32_f16_e32 v6, v9
	s_delay_alu instid0(VALU_DEP_2) | instskip(NEXT) | instid1(VALU_DEP_2)
	v_cvt_f32_f16_e32 v4, v4
	v_cvt_f64_f32_e32 v[6:7], v6
	s_delay_alu instid0(VALU_DEP_2) | instskip(NEXT) | instid1(VALU_DEP_2)
	v_cvt_f64_f32_e32 v[8:9], v4
	v_mul_f64_e32 v[6:7], s[8:9], v[6:7]
	s_delay_alu instid0(VALU_DEP_2) | instskip(NEXT) | instid1(VALU_DEP_2)
	v_mul_f64_e32 v[8:9], s[8:9], v[8:9]
	v_and_or_b32 v4, 0x1ff, v7, v6
	s_delay_alu instid0(VALU_DEP_2)
	v_and_or_b32 v8, 0x1ff, v9, v8
	v_lshrrev_b32_e32 v6, 8, v7
	v_bfe_u32 v10, v7, 20, 11
	v_lshrrev_b32_e32 v11, 8, v9
	v_cmp_ne_u32_e32 vcc_lo, 0, v4
	v_bfe_u32 v12, v9, 20, 11
	v_lshrrev_b32_e32 v7, 16, v7
	v_sub_nc_u32_e32 v13, 0x3f1, v10
	v_add_nc_u32_e32 v10, 0xfffffc10, v10
	s_wait_alu 0xfffd
	v_cndmask_b32_e64 v4, 0, 1, vcc_lo
	v_cmp_ne_u32_e32 vcc_lo, 0, v8
	v_lshrrev_b32_e32 v9, 16, v9
	s_delay_alu instid0(VALU_DEP_3) | instskip(SKIP_4) | instid1(VALU_DEP_3)
	v_and_or_b32 v4, 0xffe, v6, v4
	s_wait_alu 0xfffd
	v_cndmask_b32_e64 v8, 0, 1, vcc_lo
	v_sub_nc_u32_e32 v6, 0x3f1, v12
	v_add_nc_u32_e32 v12, 0xfffffc10, v12
	v_and_or_b32 v8, 0xffe, v11, v8
	v_med3_i32 v11, v13, 0, 13
	v_or_b32_e32 v13, 0x1000, v4
	v_med3_i32 v6, v6, 0, 13
	s_delay_alu instid0(VALU_DEP_4) | instskip(NEXT) | instid1(VALU_DEP_3)
	v_or_b32_e32 v14, 0x1000, v8
	v_lshrrev_b32_e32 v15, v11, v13
	s_delay_alu instid0(VALU_DEP_2) | instskip(NEXT) | instid1(VALU_DEP_2)
	v_lshrrev_b32_e32 v16, v6, v14
	v_lshlrev_b32_e32 v11, v11, v15
	s_delay_alu instid0(VALU_DEP_2) | instskip(NEXT) | instid1(VALU_DEP_2)
	v_lshlrev_b32_e32 v6, v6, v16
	v_cmp_ne_u32_e32 vcc_lo, v11, v13
	v_lshl_or_b32 v13, v10, 12, v4
	s_wait_alu 0xfffd
	v_cndmask_b32_e64 v11, 0, 1, vcc_lo
	v_cmp_ne_u32_e32 vcc_lo, v6, v14
	v_lshl_or_b32 v14, v12, 12, v8
	s_delay_alu instid0(VALU_DEP_3) | instskip(SKIP_3) | instid1(VALU_DEP_2)
	v_or_b32_e32 v11, v15, v11
	s_wait_alu 0xfffd
	v_cndmask_b32_e64 v6, 0, 1, vcc_lo
	v_cmp_gt_i32_e32 vcc_lo, 1, v10
	v_or_b32_e32 v6, v16, v6
	s_wait_alu 0xfffd
	v_cndmask_b32_e32 v11, v13, v11, vcc_lo
	v_cmp_gt_i32_e32 vcc_lo, 1, v12
	s_wait_alu 0xfffd
	s_delay_alu instid0(VALU_DEP_2) | instskip(SKIP_2) | instid1(VALU_DEP_3)
	v_dual_cndmask_b32 v6, v14, v6 :: v_dual_and_b32 v13, 7, v11
	v_cmp_ne_u32_e32 vcc_lo, 0, v4
	v_lshrrev_b32_e32 v11, 2, v11
	v_cmp_eq_u32_e64 s0, 3, v13
	s_delay_alu instid0(VALU_DEP_4)
	v_and_b32_e32 v14, 7, v6
	s_wait_alu 0xfffd
	v_cndmask_b32_e64 v4, 0, 1, vcc_lo
	v_cmp_ne_u32_e32 vcc_lo, 0, v8
	v_lshrrev_b32_e32 v6, 2, v6
	v_cmp_lt_i32_e64 s1, 5, v14
	v_cmp_eq_u32_e64 s2, 3, v14
	s_wait_alu 0xfffd
	v_cndmask_b32_e64 v8, 0, 1, vcc_lo
	v_cmp_lt_i32_e32 vcc_lo, 5, v13
	v_lshl_or_b32 v4, v4, 9, 0x7c00
	s_delay_alu instid0(VALU_DEP_3)
	v_lshl_or_b32 v8, v8, 9, 0x7c00
	s_or_b32 vcc_lo, s0, vcc_lo
	s_wait_alu 0xfffe
	v_add_co_ci_u32_e32 v11, vcc_lo, 0, v11, vcc_lo
	s_or_b32 vcc_lo, s2, s1
	s_wait_alu 0xfffe
	v_add_co_ci_u32_e32 v6, vcc_lo, 0, v6, vcc_lo
	v_cmp_gt_i32_e32 vcc_lo, 31, v10
	s_wait_alu 0xfffd
	v_cndmask_b32_e32 v11, 0x7c00, v11, vcc_lo
	v_cmp_gt_i32_e32 vcc_lo, 31, v12
	s_wait_alu 0xfffd
	v_cndmask_b32_e32 v6, 0x7c00, v6, vcc_lo
	v_cmp_eq_u32_e32 vcc_lo, 0x40f, v10
	s_wait_alu 0xfffd
	v_cndmask_b32_e32 v4, v11, v4, vcc_lo
	v_cmp_eq_u32_e32 vcc_lo, 0x40f, v12
	s_delay_alu instid0(VALU_DEP_2)
	v_and_or_b32 v4, 0x8000, v7, v4
	s_wait_alu 0xfffd
	v_cndmask_b32_e32 v6, v6, v8, vcc_lo
	v_add_co_u32 v2, vcc_lo, v2, s6
	s_wait_alu 0xfffd
	v_add_co_ci_u32_e32 v3, vcc_lo, s7, v3, vcc_lo
	s_delay_alu instid0(VALU_DEP_3) | instskip(SKIP_1) | instid1(VALU_DEP_1)
	v_and_or_b32 v6, 0x8000, v9, v6
	v_and_b32_e32 v4, 0xffff, v4
	v_lshl_or_b32 v4, v6, 16, v4
	v_lshrrev_b32_e32 v6, 16, v5
	global_store_b32 v[2:3], v4, off
	global_load_b32 v4, v59, s[12:13] offset:6720
	s_wait_loadcnt 0x0
	v_lshrrev_b32_e32 v7, 16, v4
	s_delay_alu instid0(VALU_DEP_1) | instskip(SKIP_1) | instid1(VALU_DEP_2)
	v_mul_f16_e32 v8, v6, v7
	v_mul_f16_e32 v7, v5, v7
	v_fmac_f16_e32 v8, v5, v4
	s_delay_alu instid0(VALU_DEP_2) | instskip(NEXT) | instid1(VALU_DEP_2)
	v_fma_f16 v4, v4, v6, -v7
	v_cvt_f32_f16_e32 v5, v8
	s_delay_alu instid0(VALU_DEP_2) | instskip(NEXT) | instid1(VALU_DEP_2)
	v_cvt_f32_f16_e32 v6, v4
	v_cvt_f64_f32_e32 v[4:5], v5
	s_delay_alu instid0(VALU_DEP_2) | instskip(NEXT) | instid1(VALU_DEP_2)
	v_cvt_f64_f32_e32 v[6:7], v6
	v_mul_f64_e32 v[4:5], s[8:9], v[4:5]
	s_delay_alu instid0(VALU_DEP_2) | instskip(NEXT) | instid1(VALU_DEP_2)
	v_mul_f64_e32 v[6:7], s[8:9], v[6:7]
	v_and_or_b32 v4, 0x1ff, v5, v4
	s_delay_alu instid0(VALU_DEP_2)
	v_and_or_b32 v6, 0x1ff, v7, v6
	v_lshrrev_b32_e32 v8, 8, v5
	v_bfe_u32 v9, v5, 20, 11
	v_lshrrev_b32_e32 v10, 8, v7
	v_cmp_ne_u32_e32 vcc_lo, 0, v4
	v_bfe_u32 v11, v7, 20, 11
	v_lshrrev_b32_e32 v5, 16, v5
	v_sub_nc_u32_e32 v12, 0x3f1, v9
	v_add_nc_u32_e32 v9, 0xfffffc10, v9
	s_wait_alu 0xfffd
	v_cndmask_b32_e64 v4, 0, 1, vcc_lo
	v_cmp_ne_u32_e32 vcc_lo, 0, v6
	v_lshrrev_b32_e32 v7, 16, v7
	s_delay_alu instid0(VALU_DEP_3) | instskip(SKIP_4) | instid1(VALU_DEP_3)
	v_and_or_b32 v4, 0xffe, v8, v4
	s_wait_alu 0xfffd
	v_cndmask_b32_e64 v6, 0, 1, vcc_lo
	v_sub_nc_u32_e32 v8, 0x3f1, v11
	v_add_nc_u32_e32 v11, 0xfffffc10, v11
	v_and_or_b32 v6, 0xffe, v10, v6
	v_med3_i32 v10, v12, 0, 13
	v_or_b32_e32 v12, 0x1000, v4
	v_med3_i32 v8, v8, 0, 13
	s_delay_alu instid0(VALU_DEP_4) | instskip(NEXT) | instid1(VALU_DEP_3)
	v_or_b32_e32 v13, 0x1000, v6
	v_lshrrev_b32_e32 v14, v10, v12
	s_delay_alu instid0(VALU_DEP_2) | instskip(NEXT) | instid1(VALU_DEP_2)
	v_lshrrev_b32_e32 v15, v8, v13
	v_lshlrev_b32_e32 v10, v10, v14
	s_delay_alu instid0(VALU_DEP_2) | instskip(NEXT) | instid1(VALU_DEP_2)
	v_lshlrev_b32_e32 v8, v8, v15
	v_cmp_ne_u32_e32 vcc_lo, v10, v12
	v_lshl_or_b32 v12, v9, 12, v4
	s_wait_alu 0xfffd
	v_cndmask_b32_e64 v10, 0, 1, vcc_lo
	v_cmp_ne_u32_e32 vcc_lo, v8, v13
	v_lshl_or_b32 v13, v11, 12, v6
	s_delay_alu instid0(VALU_DEP_3) | instskip(SKIP_3) | instid1(VALU_DEP_2)
	v_or_b32_e32 v10, v14, v10
	s_wait_alu 0xfffd
	v_cndmask_b32_e64 v8, 0, 1, vcc_lo
	v_cmp_gt_i32_e32 vcc_lo, 1, v9
	v_or_b32_e32 v8, v15, v8
	s_wait_alu 0xfffd
	v_cndmask_b32_e32 v10, v12, v10, vcc_lo
	v_cmp_gt_i32_e32 vcc_lo, 1, v11
	s_delay_alu instid0(VALU_DEP_2)
	v_and_b32_e32 v12, 7, v10
	s_wait_alu 0xfffd
	v_cndmask_b32_e32 v8, v13, v8, vcc_lo
	v_cmp_ne_u32_e32 vcc_lo, 0, v4
	v_lshrrev_b32_e32 v10, 2, v10
	v_cmp_eq_u32_e64 s0, 3, v12
	s_delay_alu instid0(VALU_DEP_4)
	v_and_b32_e32 v13, 7, v8
	s_wait_alu 0xfffd
	v_cndmask_b32_e64 v4, 0, 1, vcc_lo
	v_cmp_ne_u32_e32 vcc_lo, 0, v6
	v_lshrrev_b32_e32 v8, 2, v8
	v_cmp_lt_i32_e64 s1, 5, v13
	v_cmp_eq_u32_e64 s2, 3, v13
	s_wait_alu 0xfffd
	v_cndmask_b32_e64 v6, 0, 1, vcc_lo
	v_cmp_lt_i32_e32 vcc_lo, 5, v12
	v_lshl_or_b32 v4, v4, 9, 0x7c00
	s_delay_alu instid0(VALU_DEP_3)
	v_lshl_or_b32 v6, v6, 9, 0x7c00
	s_or_b32 vcc_lo, s0, vcc_lo
	s_wait_alu 0xfffe
	v_add_co_ci_u32_e32 v10, vcc_lo, 0, v10, vcc_lo
	s_or_b32 vcc_lo, s2, s1
	s_wait_alu 0xfffe
	v_add_co_ci_u32_e32 v8, vcc_lo, 0, v8, vcc_lo
	v_cmp_gt_i32_e32 vcc_lo, 31, v9
	s_wait_alu 0xfffd
	v_cndmask_b32_e32 v10, 0x7c00, v10, vcc_lo
	v_cmp_gt_i32_e32 vcc_lo, 31, v11
	s_wait_alu 0xfffd
	v_cndmask_b32_e32 v8, 0x7c00, v8, vcc_lo
	v_cmp_eq_u32_e32 vcc_lo, 0x40f, v9
	s_wait_alu 0xfffd
	v_cndmask_b32_e32 v4, v10, v4, vcc_lo
	v_cmp_eq_u32_e32 vcc_lo, 0x40f, v11
	s_delay_alu instid0(VALU_DEP_2)
	v_and_or_b32 v4, 0x8000, v5, v4
	s_wait_alu 0xfffd
	v_cndmask_b32_e32 v6, v8, v6, vcc_lo
	v_add_co_u32 v2, vcc_lo, v2, s6
	s_wait_alu 0xfffd
	v_add_co_ci_u32_e32 v3, vcc_lo, s7, v3, vcc_lo
	s_delay_alu instid0(VALU_DEP_3) | instskip(SKIP_1) | instid1(VALU_DEP_1)
	v_and_or_b32 v5, 0x8000, v7, v6
	v_and_b32_e32 v4, 0xffff, v4
	v_lshl_or_b32 v4, v5, 16, v4
	global_store_b32 v[2:3], v4, off
	global_load_b32 v6, v59, s[12:13] offset:7200
	v_add_nc_u32_e32 v4, 0x1c00, v59
	ds_load_2addr_b32 v[4:5], v4 offset0:8 offset1:128
	s_wait_dscnt 0x0
	v_lshrrev_b32_e32 v7, 16, v4
	s_wait_loadcnt 0x0
	v_lshrrev_b32_e32 v8, 16, v6
	s_delay_alu instid0(VALU_DEP_1) | instskip(SKIP_1) | instid1(VALU_DEP_2)
	v_mul_f16_e32 v9, v7, v8
	v_mul_f16_e32 v8, v4, v8
	v_fmac_f16_e32 v9, v4, v6
	s_delay_alu instid0(VALU_DEP_2) | instskip(NEXT) | instid1(VALU_DEP_2)
	v_fma_f16 v4, v6, v7, -v8
	v_cvt_f32_f16_e32 v6, v9
	s_delay_alu instid0(VALU_DEP_2) | instskip(NEXT) | instid1(VALU_DEP_2)
	v_cvt_f32_f16_e32 v4, v4
	v_cvt_f64_f32_e32 v[6:7], v6
	s_delay_alu instid0(VALU_DEP_2) | instskip(NEXT) | instid1(VALU_DEP_2)
	v_cvt_f64_f32_e32 v[8:9], v4
	v_mul_f64_e32 v[6:7], s[8:9], v[6:7]
	s_delay_alu instid0(VALU_DEP_2) | instskip(NEXT) | instid1(VALU_DEP_2)
	v_mul_f64_e32 v[8:9], s[8:9], v[8:9]
	v_and_or_b32 v4, 0x1ff, v7, v6
	s_delay_alu instid0(VALU_DEP_2)
	v_and_or_b32 v8, 0x1ff, v9, v8
	v_lshrrev_b32_e32 v6, 8, v7
	v_bfe_u32 v10, v7, 20, 11
	v_lshrrev_b32_e32 v11, 8, v9
	v_cmp_ne_u32_e32 vcc_lo, 0, v4
	v_bfe_u32 v12, v9, 20, 11
	v_lshrrev_b32_e32 v7, 16, v7
	v_sub_nc_u32_e32 v13, 0x3f1, v10
	v_add_nc_u32_e32 v10, 0xfffffc10, v10
	s_wait_alu 0xfffd
	v_cndmask_b32_e64 v4, 0, 1, vcc_lo
	v_cmp_ne_u32_e32 vcc_lo, 0, v8
	v_lshrrev_b32_e32 v9, 16, v9
	s_delay_alu instid0(VALU_DEP_3) | instskip(SKIP_4) | instid1(VALU_DEP_3)
	v_and_or_b32 v4, 0xffe, v6, v4
	s_wait_alu 0xfffd
	v_cndmask_b32_e64 v8, 0, 1, vcc_lo
	v_sub_nc_u32_e32 v6, 0x3f1, v12
	v_add_nc_u32_e32 v12, 0xfffffc10, v12
	v_and_or_b32 v8, 0xffe, v11, v8
	v_med3_i32 v11, v13, 0, 13
	v_or_b32_e32 v13, 0x1000, v4
	v_med3_i32 v6, v6, 0, 13
	s_delay_alu instid0(VALU_DEP_4) | instskip(NEXT) | instid1(VALU_DEP_3)
	v_or_b32_e32 v14, 0x1000, v8
	v_lshrrev_b32_e32 v15, v11, v13
	s_delay_alu instid0(VALU_DEP_2) | instskip(NEXT) | instid1(VALU_DEP_2)
	v_lshrrev_b32_e32 v16, v6, v14
	v_lshlrev_b32_e32 v11, v11, v15
	s_delay_alu instid0(VALU_DEP_2) | instskip(NEXT) | instid1(VALU_DEP_2)
	v_lshlrev_b32_e32 v6, v6, v16
	v_cmp_ne_u32_e32 vcc_lo, v11, v13
	v_lshl_or_b32 v13, v10, 12, v4
	s_wait_alu 0xfffd
	v_cndmask_b32_e64 v11, 0, 1, vcc_lo
	v_cmp_ne_u32_e32 vcc_lo, v6, v14
	v_lshl_or_b32 v14, v12, 12, v8
	s_delay_alu instid0(VALU_DEP_3) | instskip(SKIP_3) | instid1(VALU_DEP_2)
	v_or_b32_e32 v11, v15, v11
	s_wait_alu 0xfffd
	v_cndmask_b32_e64 v6, 0, 1, vcc_lo
	v_cmp_gt_i32_e32 vcc_lo, 1, v10
	v_or_b32_e32 v6, v16, v6
	s_wait_alu 0xfffd
	v_cndmask_b32_e32 v11, v13, v11, vcc_lo
	v_cmp_gt_i32_e32 vcc_lo, 1, v12
	s_wait_alu 0xfffd
	s_delay_alu instid0(VALU_DEP_2) | instskip(SKIP_2) | instid1(VALU_DEP_3)
	v_dual_cndmask_b32 v6, v14, v6 :: v_dual_and_b32 v13, 7, v11
	v_cmp_ne_u32_e32 vcc_lo, 0, v4
	v_lshrrev_b32_e32 v11, 2, v11
	v_cmp_eq_u32_e64 s0, 3, v13
	s_delay_alu instid0(VALU_DEP_4)
	v_and_b32_e32 v14, 7, v6
	s_wait_alu 0xfffd
	v_cndmask_b32_e64 v4, 0, 1, vcc_lo
	v_cmp_ne_u32_e32 vcc_lo, 0, v8
	v_lshrrev_b32_e32 v6, 2, v6
	v_cmp_lt_i32_e64 s1, 5, v14
	v_cmp_eq_u32_e64 s2, 3, v14
	s_wait_alu 0xfffd
	v_cndmask_b32_e64 v8, 0, 1, vcc_lo
	v_cmp_lt_i32_e32 vcc_lo, 5, v13
	v_lshl_or_b32 v4, v4, 9, 0x7c00
	s_delay_alu instid0(VALU_DEP_3)
	v_lshl_or_b32 v8, v8, 9, 0x7c00
	s_or_b32 vcc_lo, s0, vcc_lo
	s_wait_alu 0xfffe
	v_add_co_ci_u32_e32 v11, vcc_lo, 0, v11, vcc_lo
	s_or_b32 vcc_lo, s2, s1
	s_wait_alu 0xfffe
	v_add_co_ci_u32_e32 v6, vcc_lo, 0, v6, vcc_lo
	v_cmp_gt_i32_e32 vcc_lo, 31, v10
	s_wait_alu 0xfffd
	v_cndmask_b32_e32 v11, 0x7c00, v11, vcc_lo
	v_cmp_gt_i32_e32 vcc_lo, 31, v12
	s_wait_alu 0xfffd
	v_cndmask_b32_e32 v6, 0x7c00, v6, vcc_lo
	v_cmp_eq_u32_e32 vcc_lo, 0x40f, v10
	s_wait_alu 0xfffd
	v_cndmask_b32_e32 v4, v11, v4, vcc_lo
	v_cmp_eq_u32_e32 vcc_lo, 0x40f, v12
	s_delay_alu instid0(VALU_DEP_2)
	v_and_or_b32 v4, 0x8000, v7, v4
	s_wait_alu 0xfffd
	v_cndmask_b32_e32 v6, v6, v8, vcc_lo
	v_add_co_u32 v2, vcc_lo, v2, s6
	s_wait_alu 0xfffd
	v_add_co_ci_u32_e32 v3, vcc_lo, s7, v3, vcc_lo
	s_delay_alu instid0(VALU_DEP_3) | instskip(SKIP_1) | instid1(VALU_DEP_1)
	v_and_or_b32 v6, 0x8000, v9, v6
	v_and_b32_e32 v4, 0xffff, v4
	v_lshl_or_b32 v4, v6, 16, v4
	global_store_b32 v[2:3], v4, off
	global_load_b32 v2, v59, s[12:13] offset:7680
	v_lshrrev_b32_e32 v3, 16, v5
	s_wait_loadcnt 0x0
	v_lshrrev_b32_e32 v4, 16, v2
	s_delay_alu instid0(VALU_DEP_1) | instskip(SKIP_1) | instid1(VALU_DEP_2)
	v_mul_f16_e32 v6, v3, v4
	v_mul_f16_e32 v4, v5, v4
	v_fmac_f16_e32 v6, v5, v2
	s_delay_alu instid0(VALU_DEP_2) | instskip(NEXT) | instid1(VALU_DEP_2)
	v_fma_f16 v2, v2, v3, -v4
	v_cvt_f32_f16_e32 v3, v6
	s_delay_alu instid0(VALU_DEP_2) | instskip(NEXT) | instid1(VALU_DEP_2)
	v_cvt_f32_f16_e32 v4, v2
	v_cvt_f64_f32_e32 v[2:3], v3
	s_delay_alu instid0(VALU_DEP_2) | instskip(NEXT) | instid1(VALU_DEP_2)
	v_cvt_f64_f32_e32 v[4:5], v4
	v_mul_f64_e32 v[2:3], s[8:9], v[2:3]
	s_delay_alu instid0(VALU_DEP_2) | instskip(NEXT) | instid1(VALU_DEP_2)
	v_mul_f64_e32 v[4:5], s[8:9], v[4:5]
	v_and_or_b32 v2, 0x1ff, v3, v2
	s_delay_alu instid0(VALU_DEP_2)
	v_and_or_b32 v4, 0x1ff, v5, v4
	v_lshrrev_b32_e32 v6, 8, v3
	v_bfe_u32 v8, v3, 20, 11
	v_bfe_u32 v9, v5, 20, 11
	v_cmp_ne_u32_e32 vcc_lo, 0, v2
	v_lshrrev_b32_e32 v7, 8, v5
	v_lshrrev_b32_e32 v5, 16, v5
	v_sub_nc_u32_e32 v10, 0x3f1, v8
	v_sub_nc_u32_e32 v11, 0x3f1, v9
	s_wait_alu 0xfffd
	v_cndmask_b32_e64 v2, 0, 1, vcc_lo
	v_cmp_ne_u32_e32 vcc_lo, 0, v4
	v_add_nc_u32_e32 v9, 0xfffffc10, v9
	s_delay_alu instid0(VALU_DEP_3)
	v_and_or_b32 v12, 0xffe, v6, v2
	s_wait_alu 0xfffd
	v_cndmask_b32_e64 v4, 0, 1, vcc_lo
	v_med3_i32 v2, v10, 0, 13
	v_med3_i32 v10, v11, 0, 13
	v_or_b32_e32 v11, 0x1000, v12
	s_delay_alu instid0(VALU_DEP_4) | instskip(SKIP_1) | instid1(VALU_DEP_3)
	v_and_or_b32 v4, 0xffe, v7, v4
	v_mad_co_u64_u32 v[6:7], null, s4, v251, 0
	v_lshrrev_b32_e32 v14, v2, v11
	s_delay_alu instid0(VALU_DEP_3) | instskip(NEXT) | instid1(VALU_DEP_2)
	v_or_b32_e32 v13, 0x1000, v4
	v_lshlrev_b32_e32 v16, v2, v14
	s_delay_alu instid0(VALU_DEP_2) | instskip(SKIP_1) | instid1(VALU_DEP_3)
	v_lshrrev_b32_e32 v15, v10, v13
	v_mov_b32_e32 v2, v7
	v_cmp_ne_u32_e32 vcc_lo, v16, v11
	s_delay_alu instid0(VALU_DEP_3) | instskip(SKIP_3) | instid1(VALU_DEP_3)
	v_lshlrev_b32_e32 v7, v10, v15
	v_add_nc_u32_e32 v10, 0xfffffc10, v8
	s_wait_alu 0xfffd
	v_cndmask_b32_e64 v11, 0, 1, vcc_lo
	v_cmp_ne_u32_e32 vcc_lo, v7, v13
	v_mad_co_u64_u32 v[7:8], null, s5, v251, v[2:3]
	v_lshl_or_b32 v2, v10, 12, v12
	s_delay_alu instid0(VALU_DEP_4)
	v_or_b32_e32 v8, v14, v11
	s_wait_alu 0xfffd
	v_cndmask_b32_e64 v13, 0, 1, vcc_lo
	v_cmp_gt_i32_e32 vcc_lo, 1, v10
	v_lshl_or_b32 v11, v9, 12, v4
	v_lshrrev_b32_e32 v3, 16, v3
	s_delay_alu instid0(VALU_DEP_4)
	v_or_b32_e32 v13, v15, v13
	s_wait_alu 0xfffd
	v_cndmask_b32_e32 v2, v2, v8, vcc_lo
	v_cmp_gt_i32_e32 vcc_lo, 1, v9
	s_wait_alu 0xfffd
	v_cndmask_b32_e32 v8, v11, v13, vcc_lo
	v_cmp_ne_u32_e32 vcc_lo, 0, v12
	v_and_b32_e32 v12, 7, v2
	v_lshrrev_b32_e32 v2, 2, v2
	s_delay_alu instid0(VALU_DEP_4)
	v_and_b32_e32 v13, 7, v8
	s_wait_alu 0xfffd
	v_cndmask_b32_e64 v11, 0, 1, vcc_lo
	v_cmp_ne_u32_e32 vcc_lo, 0, v4
	v_cmp_eq_u32_e64 s0, 3, v12
	v_lshrrev_b32_e32 v8, 2, v8
	v_cmp_lt_i32_e64 s1, 5, v13
	v_cmp_eq_u32_e64 s2, 3, v13
	s_wait_alu 0xfffd
	v_cndmask_b32_e64 v4, 0, 1, vcc_lo
	v_cmp_lt_i32_e32 vcc_lo, 5, v12
	v_lshl_or_b32 v11, v11, 9, 0x7c00
	s_delay_alu instid0(VALU_DEP_3)
	v_lshl_or_b32 v4, v4, 9, 0x7c00
	s_or_b32 vcc_lo, s0, vcc_lo
	s_wait_alu 0xfffe
	v_add_co_ci_u32_e32 v2, vcc_lo, 0, v2, vcc_lo
	s_or_b32 vcc_lo, s2, s1
	s_wait_alu 0xfffe
	v_add_co_ci_u32_e32 v8, vcc_lo, 0, v8, vcc_lo
	v_cmp_gt_i32_e32 vcc_lo, 31, v10
	s_wait_alu 0xfffd
	v_cndmask_b32_e32 v2, 0x7c00, v2, vcc_lo
	v_cmp_gt_i32_e32 vcc_lo, 31, v9
	s_wait_alu 0xfffd
	v_cndmask_b32_e32 v8, 0x7c00, v8, vcc_lo
	v_cmp_eq_u32_e32 vcc_lo, 0x40f, v10
	s_wait_alu 0xfffd
	v_cndmask_b32_e32 v2, v2, v11, vcc_lo
	v_cmp_eq_u32_e32 vcc_lo, 0x40f, v9
	s_delay_alu instid0(VALU_DEP_2) | instskip(SKIP_2) | instid1(VALU_DEP_1)
	v_and_or_b32 v2, 0x8000, v3, v2
	s_wait_alu 0xfffd
	v_cndmask_b32_e32 v4, v8, v4, vcc_lo
	v_and_or_b32 v4, 0x8000, v5, v4
	s_delay_alu instid0(VALU_DEP_3) | instskip(SKIP_1) | instid1(VALU_DEP_2)
	v_and_b32_e32 v5, 0xffff, v2
	v_lshlrev_b64_e32 v[2:3], 2, v[6:7]
	v_lshl_or_b32 v4, v4, 16, v5
	s_delay_alu instid0(VALU_DEP_2) | instskip(SKIP_1) | instid1(VALU_DEP_3)
	v_add_co_u32 v0, vcc_lo, v0, v2
	s_wait_alu 0xfffd
	v_add_co_ci_u32_e32 v1, vcc_lo, v1, v3, vcc_lo
	global_store_b32 v[0:1], v4, off
.LBB0_23:
	s_nop 0
	s_sendmsg sendmsg(MSG_DEALLOC_VGPRS)
	s_endpgm
	.section	.rodata,"a",@progbits
	.p2align	6, 0x0
	.amdhsa_kernel bluestein_single_fwd_len2040_dim1_half_op_CI_CI
		.amdhsa_group_segment_fixed_size 8160
		.amdhsa_private_segment_fixed_size 20
		.amdhsa_kernarg_size 104
		.amdhsa_user_sgpr_count 2
		.amdhsa_user_sgpr_dispatch_ptr 0
		.amdhsa_user_sgpr_queue_ptr 0
		.amdhsa_user_sgpr_kernarg_segment_ptr 1
		.amdhsa_user_sgpr_dispatch_id 0
		.amdhsa_user_sgpr_private_segment_size 0
		.amdhsa_wavefront_size32 1
		.amdhsa_uses_dynamic_stack 0
		.amdhsa_enable_private_segment 1
		.amdhsa_system_sgpr_workgroup_id_x 1
		.amdhsa_system_sgpr_workgroup_id_y 0
		.amdhsa_system_sgpr_workgroup_id_z 0
		.amdhsa_system_sgpr_workgroup_info 0
		.amdhsa_system_vgpr_workitem_id 0
		.amdhsa_next_free_vgpr 256
		.amdhsa_next_free_sgpr 16
		.amdhsa_reserve_vcc 1
		.amdhsa_float_round_mode_32 0
		.amdhsa_float_round_mode_16_64 0
		.amdhsa_float_denorm_mode_32 3
		.amdhsa_float_denorm_mode_16_64 3
		.amdhsa_fp16_overflow 0
		.amdhsa_workgroup_processor_mode 1
		.amdhsa_memory_ordered 1
		.amdhsa_forward_progress 0
		.amdhsa_round_robin_scheduling 0
		.amdhsa_exception_fp_ieee_invalid_op 0
		.amdhsa_exception_fp_denorm_src 0
		.amdhsa_exception_fp_ieee_div_zero 0
		.amdhsa_exception_fp_ieee_overflow 0
		.amdhsa_exception_fp_ieee_underflow 0
		.amdhsa_exception_fp_ieee_inexact 0
		.amdhsa_exception_int_div_zero 0
	.end_amdhsa_kernel
	.text
.Lfunc_end0:
	.size	bluestein_single_fwd_len2040_dim1_half_op_CI_CI, .Lfunc_end0-bluestein_single_fwd_len2040_dim1_half_op_CI_CI
                                        ; -- End function
	.section	.AMDGPU.csdata,"",@progbits
; Kernel info:
; codeLenInByte = 40664
; NumSgprs: 18
; NumVgprs: 256
; ScratchSize: 20
; MemoryBound: 0
; FloatMode: 240
; IeeeMode: 1
; LDSByteSize: 8160 bytes/workgroup (compile time only)
; SGPRBlocks: 2
; VGPRBlocks: 31
; NumSGPRsForWavesPerEU: 18
; NumVGPRsForWavesPerEU: 256
; Occupancy: 5
; WaveLimiterHint : 1
; COMPUTE_PGM_RSRC2:SCRATCH_EN: 1
; COMPUTE_PGM_RSRC2:USER_SGPR: 2
; COMPUTE_PGM_RSRC2:TRAP_HANDLER: 0
; COMPUTE_PGM_RSRC2:TGID_X_EN: 1
; COMPUTE_PGM_RSRC2:TGID_Y_EN: 0
; COMPUTE_PGM_RSRC2:TGID_Z_EN: 0
; COMPUTE_PGM_RSRC2:TIDIG_COMP_CNT: 0
	.text
	.p2alignl 7, 3214868480
	.fill 96, 4, 3214868480
	.type	__hip_cuid_dcf2a6d8f3fde44f,@object ; @__hip_cuid_dcf2a6d8f3fde44f
	.section	.bss,"aw",@nobits
	.globl	__hip_cuid_dcf2a6d8f3fde44f
__hip_cuid_dcf2a6d8f3fde44f:
	.byte	0                               ; 0x0
	.size	__hip_cuid_dcf2a6d8f3fde44f, 1

	.ident	"AMD clang version 19.0.0git (https://github.com/RadeonOpenCompute/llvm-project roc-6.4.0 25133 c7fe45cf4b819c5991fe208aaa96edf142730f1d)"
	.section	".note.GNU-stack","",@progbits
	.addrsig
	.addrsig_sym __hip_cuid_dcf2a6d8f3fde44f
	.amdgpu_metadata
---
amdhsa.kernels:
  - .args:
      - .actual_access:  read_only
        .address_space:  global
        .offset:         0
        .size:           8
        .value_kind:     global_buffer
      - .actual_access:  read_only
        .address_space:  global
        .offset:         8
        .size:           8
        .value_kind:     global_buffer
      - .actual_access:  read_only
        .address_space:  global
        .offset:         16
        .size:           8
        .value_kind:     global_buffer
      - .actual_access:  read_only
        .address_space:  global
        .offset:         24
        .size:           8
        .value_kind:     global_buffer
      - .actual_access:  read_only
        .address_space:  global
        .offset:         32
        .size:           8
        .value_kind:     global_buffer
      - .offset:         40
        .size:           8
        .value_kind:     by_value
      - .address_space:  global
        .offset:         48
        .size:           8
        .value_kind:     global_buffer
      - .address_space:  global
        .offset:         56
        .size:           8
        .value_kind:     global_buffer
      - .address_space:  global
        .offset:         64
        .size:           8
        .value_kind:     global_buffer
      - .address_space:  global
        .offset:         72
        .size:           8
        .value_kind:     global_buffer
      - .offset:         80
        .size:           4
        .value_kind:     by_value
      - .address_space:  global
        .offset:         88
        .size:           8
        .value_kind:     global_buffer
      - .address_space:  global
        .offset:         96
        .size:           8
        .value_kind:     global_buffer
    .group_segment_fixed_size: 8160
    .kernarg_segment_align: 8
    .kernarg_segment_size: 104
    .language:       OpenCL C
    .language_version:
      - 2
      - 0
    .max_flat_workgroup_size: 170
    .name:           bluestein_single_fwd_len2040_dim1_half_op_CI_CI
    .private_segment_fixed_size: 20
    .sgpr_count:     18
    .sgpr_spill_count: 0
    .symbol:         bluestein_single_fwd_len2040_dim1_half_op_CI_CI.kd
    .uniform_work_group_size: 1
    .uses_dynamic_stack: false
    .vgpr_count:     256
    .vgpr_spill_count: 4
    .wavefront_size: 32
    .workgroup_processor_mode: 1
amdhsa.target:   amdgcn-amd-amdhsa--gfx1201
amdhsa.version:
  - 1
  - 2
...

	.end_amdgpu_metadata
